;; amdgpu-corpus repo=zjin-lcf/HeCBench kind=compiled arch=gfx950 opt=O3
	.amdgcn_target "amdgcn-amd-amdhsa--gfx950"
	.amdhsa_code_object_version 6
	.text
	.p2align	2                               ; -- Begin function _Z12cuda_rys_pbfPKdS0_S0_S0_
	.type	_Z12cuda_rys_pbfPKdS0_S0_S0_,@function
_Z12cuda_rys_pbfPKdS0_S0_S0_:           ; @_Z12cuda_rys_pbfPKdS0_S0_S0_
; %bb.0:
	s_waitcnt vmcnt(0) expcnt(0) lgkmcnt(0)
	s_or_saveexec_b64 s[0:1], -1
	scratch_store_dword off, v91, s32 offset:372 ; 4-byte Folded Spill
	scratch_store_dword off, v92, s32 offset:376 ; 4-byte Folded Spill
	s_mov_b64 exec, s[0:1]
	scratch_store_dword off, v40, s32 offset:104 ; 4-byte Folded Spill
	scratch_store_dword off, v41, s32 offset:100 ; 4-byte Folded Spill
	;; [unrolled: 1-line block ×26, first 2 shown]
	scratch_store_dword off, v90, s32       ; 4-byte Folded Spill
	v_writelane_b32 v91, s34, 0
	v_writelane_b32 v91, s35, 1
	;; [unrolled: 1-line block ×35, first 2 shown]
	s_nop 1
	v_writelane_b32 v91, s31, 35
	flat_load_dwordx4 v[20:23], v[0:1]
	flat_load_dwordx4 v[24:27], v[0:1] offset:16
	flat_load_dwordx4 v[28:31], v[0:1] offset:32
	flat_load_dwordx4 v[8:11], v[0:1] offset:48
	flat_load_dwordx4 v[48:51], v[2:3]
	flat_load_dwordx4 v[82:85], v[2:3] offset:16
	flat_load_dwordx4 v[96:99], v[2:3] offset:32
	flat_load_dwordx4 v[12:15], v[2:3] offset:48
	;; [unrolled: 4-line block ×3, first 2 shown]
	flat_load_dwordx4 v[40:43], v[6:7]
	flat_load_dwordx4 v[44:47], v[6:7] offset:16
                                        ; kill: killed $vgpr2 killed $vgpr3
                                        ; kill: killed $vgpr4 killed $vgpr5
                                        ; kill: killed $vgpr0 killed $vgpr1
	flat_load_dwordx4 v[56:59], v[6:7] offset:32
	flat_load_dwordx4 v[0:3], v[6:7] offset:48
	s_waitcnt vmcnt(0) lgkmcnt(0)
	v_cvt_f32_f64_e32 v67, v[20:21]
	v_cvt_f32_f64_e32 v36, v[24:25]
	;; [unrolled: 1-line block ×6, first 2 shown]
	v_cvt_i32_f64_e32 v24, v[84:85]
	v_cvt_f32_f64_e32 v71, v[12:13]
	v_cvt_i32_f64_e32 v53, v[26:27]
	v_cvt_i32_f64_e32 v39, v[28:29]
	v_add_f32_e32 v37, v69, v71
	v_mul_f32_e32 v4, v54, v71
	v_cvt_i32_f64_e32 v33, v[30:31]
	v_fmac_f32_e32 v4, v52, v69
	v_cvt_i32_f64_e32 v25, v[96:97]
	v_cvt_i32_f64_e32 v26, v[98:99]
	v_div_scale_f32 v8, s[0:1], v37, v37, v4
	v_cvt_f32_f64_e32 v85, v[0:1]
	v_mul_f32_e32 v1, v80, v71
	v_fmac_f32_e32 v1, v67, v69
	v_add_u32_e32 v0, v39, v53
	v_div_scale_f32 v6, s[0:1], v37, v37, v1
	v_add3_u32 v0, v0, v33, v24
	v_rcp_f32_e32 v13, v6
	v_cvt_i32_f64_e32 v64, v[114:115]
	v_cvt_i32_f64_e32 v50, v[116:117]
	v_cvt_f32_f64_e32 v84, v[16:17]
	v_add3_u32 v0, v0, v25, v26
	v_rcp_f32_e32 v16, v8
	v_cvt_i32_f64_e32 v34, v[118:119]
	v_cvt_i32_f64_e32 v27, v[46:47]
	v_add3_u32 v0, v0, v64, v50
	v_cvt_f32_f64_e32 v48, v[82:83]
	v_cvt_i32_f64_e32 v28, v[56:57]
	v_cvt_i32_f64_e32 v29, v[58:59]
	v_add3_u32 v0, v0, v34, v27
	v_mul_f32_e32 v5, v48, v71
	v_add3_u32 v87, v0, v28, v29
	v_fma_f32 v0, -v6, v13, 1.0
	v_fmac_f32_e32 v5, v36, v69
	v_div_scale_f32 v7, vcc, v1, v37, v1
	v_fma_f32 v20, -v8, v16, 1.0
	v_fmac_f32_e32 v13, v0, v13
	v_div_scale_f32 v9, s[0:1], v4, v37, v4
	v_div_scale_f32 v12, s[2:3], v37, v37, v5
	v_fmac_f32_e32 v16, v20, v16
	v_mul_f32_e32 v0, v7, v13
	v_rcp_f32_e32 v17, v12
	v_mul_f32_e32 v20, v9, v16
	v_fma_f32 v22, -v6, v0, v7
	v_fma_f32 v23, -v8, v20, v9
	v_fmac_f32_e32 v0, v22, v13
	v_fmac_f32_e32 v20, v23, v16
	v_fma_f32 v6, -v6, v0, v7
	v_fma_f32 v7, -v8, v20, v9
	v_div_fmas_f32 v0, v6, v13, v0
	s_mov_b64 vcc, s[0:1]
	v_fma_f32 v21, -v12, v17, 1.0
	v_div_fixup_f32 v83, v0, v37, v1
	v_div_fmas_f32 v0, v7, v16, v20
	v_div_fixup_f32 v68, v0, v37, v4
	v_fmac_f32_e32 v17, v21, v17
	v_div_scale_f32 v0, vcc, v5, v37, v5
	v_mul_f32_e32 v1, v0, v17
	v_cvt_f32_f64_e32 v81, v[40:41]
	v_fma_f32 v4, -v12, v1, v0
	v_cvt_f32_f64_e32 v66, v[100:101]
	v_fmac_f32_e32 v1, v4, v17
	v_mul_f32_e32 v4, v81, v85
	v_add_f32_e32 v38, v84, v85
	v_fmac_f32_e32 v4, v66, v84
	v_div_scale_f32 v6, s[0:1], v38, v38, v4
	v_rcp_f32_e32 v7, v6
	v_fma_f32 v0, -v12, v1, v0
	v_div_fmas_f32 v0, v0, v17, v1
	v_div_fixup_f32 v65, v0, v37, v5
	v_fma_f32 v0, -v6, v7, 1.0
	v_fmac_f32_e32 v7, v0, v7
	v_div_scale_f32 v0, vcc, v4, v38, v4
	v_mul_f32_e32 v1, v0, v7
	v_cvt_f32_f64_e32 v55, v[42:43]
	v_fma_f32 v5, -v6, v1, v0
	v_cvt_f32_f64_e32 v51, v[102:103]
	v_fmac_f32_e32 v1, v5, v7
	v_mul_f32_e32 v5, v55, v85
	v_fmac_f32_e32 v5, v51, v84
	v_fma_f32 v0, -v6, v1, v0
	v_div_scale_f32 v6, s[0:1], v38, v38, v5
	v_rcp_f32_e32 v8, v6
	v_div_fmas_f32 v0, v0, v7, v1
	v_div_fixup_f32 v86, v0, v38, v4
	v_cvt_f32_f64_e32 v49, v[44:45]
	v_fma_f32 v0, -v6, v8, 1.0
	v_fmac_f32_e32 v8, v0, v8
	v_div_scale_f32 v0, vcc, v5, v38, v5
	v_mul_f32_e32 v1, v0, v8
	v_fma_f32 v4, -v6, v1, v0
	v_cvt_f32_f64_e32 v35, v[112:113]
	v_fmac_f32_e32 v1, v4, v8
	v_mul_f32_e32 v4, v49, v85
	v_fmac_f32_e32 v4, v35, v84
	v_fma_f32 v0, -v6, v1, v0
	v_div_scale_f32 v6, s[0:1], v38, v38, v4
	v_rcp_f32_e32 v7, v6
	v_div_fmas_f32 v0, v0, v8, v1
	v_div_fixup_f32 v82, v0, v38, v5
	v_mul_f32_e32 v96, v37, v38
	v_fma_f32 v0, -v6, v7, 1.0
	v_fmac_f32_e32 v7, v0, v7
	v_div_scale_f32 v0, vcc, v4, v38, v4
	v_mul_f32_e32 v1, v0, v7
	v_fma_f32 v5, -v6, v1, v0
	v_add_f32_e32 v31, v37, v38
	v_fmac_f32_e32 v1, v5, v7
	v_div_scale_f32 v5, s[0:1], v31, v31, v96
	v_fma_f32 v0, -v6, v1, v0
	v_rcp_f32_e32 v6, v5
	v_div_fmas_f32 v0, v0, v7, v1
	v_div_fixup_f32 v70, v0, v38, v4
	v_fma_f32 v0, -v5, v6, 1.0
	v_fmac_f32_e32 v6, v0, v6
	v_div_scale_f32 v0, vcc, v96, v31, v96
	v_mul_f32_e32 v1, v0, v6
	v_fma_f32 v4, -v5, v1, v0
	v_fmac_f32_e32 v1, v4, v6
	v_fma_f32 v0, -v5, v1, v0
	v_div_fmas_f32 v0, v0, v6, v1
	v_sub_f32_e32 v1, v68, v82
	v_div_fixup_f32 v30, v0, v31, v96
	v_sub_f32_e32 v0, v83, v86
	v_mul_f32_e32 v1, v1, v1
	v_lshrrev_b32_e32 v4, 31, v87
	v_fmac_f32_e32 v1, v0, v0
	v_sub_f32_e32 v0, v65, v70
	v_add_u32_e32 v4, v87, v4
	v_fmac_f32_e32 v1, v0, v0
	v_ashrrev_i32_e32 v32, 1, v4
	v_mul_f32_e32 v0, v30, v1
	v_cmp_lt_i32_e32 vcc, 5, v87
	s_and_saveexec_b64 s[0:1], vcc
	s_xor_b64 s[4:5], exec, s[0:1]
	s_cbranch_execz .LBB0_82
; %bb.1:
	v_cmp_lt_i32_e32 vcc, 3, v32
	s_and_saveexec_b64 s[0:1], vcc
	s_xor_b64 s[6:7], exec, s[0:1]
	s_cbranch_execz .LBB0_41
; %bb.2:
	v_cmp_eq_u32_e32 vcc, 4, v32
	s_and_saveexec_b64 s[8:9], vcc
	s_cbranch_execz .LBB0_40
; %bb.3:
	s_mov_b32 s0, 0x34a10fb0
	v_cmp_ngt_f32_e32 vcc, s0, v0
                                        ; implicit-def: $vgpr9
                                        ; implicit-def: $vgpr21
                                        ; implicit-def: $vgpr6_vgpr7
	s_and_saveexec_b64 s[0:1], vcc
	s_xor_b64 s[10:11], exec, s[0:1]
	s_cbranch_execz .LBB0_37
; %bb.4:
	v_cmp_ngt_f32_e32 vcc, 1.0, v0
                                        ; implicit-def: $vgpr9
                                        ; implicit-def: $vgpr21
                                        ; implicit-def: $vgpr6_vgpr7
	s_and_saveexec_b64 s[0:1], vcc
	s_xor_b64 s[12:13], exec, s[0:1]
	s_cbranch_execz .LBB0_34
; %bb.5:
	s_mov_b32 s0, 0x40a00000
	v_cmp_ngt_f32_e32 vcc, s0, v0
                                        ; implicit-def: $vgpr9
                                        ; implicit-def: $vgpr21
                                        ; implicit-def: $vgpr6_vgpr7
	s_and_saveexec_b64 s[0:1], vcc
	s_xor_b64 s[14:15], exec, s[0:1]
	s_cbranch_execz .LBB0_31
; %bb.6:
	s_mov_b32 s0, 0x41200000
	v_cmp_ngt_f32_e32 vcc, s0, v0
	;; [unrolled: 9-line block ×6, first 2 shown]
                                        ; implicit-def: $vgpr9
                                        ; implicit-def: $vgpr21
                                        ; implicit-def: $vgpr6_vgpr7
	s_and_saveexec_b64 s[0:1], vcc
	s_xor_b64 s[24:25], exec, s[0:1]
	s_cbranch_execz .LBB0_16
; %bb.11:
	s_mov_b32 s2, 0x3f490fdb
	v_div_scale_f32 v1, s[0:1], v0, v0, s2
	v_rcp_f32_e32 v4, v1
	v_div_scale_f32 v5, vcc, s2, v0, s2
	s_mov_b32 s0, 0xf800000
	v_fma_f32 v6, -v1, v4, 1.0
	v_fmac_f32_e32 v4, v6, v4
	v_mul_f32_e32 v6, v5, v4
	v_fma_f32 v7, -v1, v6, v5
	v_fmac_f32_e32 v6, v7, v4
	v_fma_f32 v1, -v1, v6, v5
	v_div_fmas_f32 v1, v1, v4, v6
	v_div_fixup_f32 v1, v1, v0, s2
	v_mul_f32_e32 v4, 0x4f800000, v1
	v_cmp_gt_f32_e32 vcc, s0, v1
	s_mov_b32 s0, 0x426c0000
	v_cmp_ngt_f32_e64 s[0:1], s0, v0
	v_cndmask_b32_e32 v1, v1, v4, vcc
	v_sqrt_f32_e32 v4, v1
                                        ; implicit-def: $vgpr9
                                        ; implicit-def: $vgpr21
	s_nop 0
	v_add_u32_e32 v5, -1, v4
	v_fma_f32 v6, -v5, v4, v1
	v_cmp_ge_f32_e64 s[2:3], 0, v6
	v_add_u32_e32 v6, 1, v4
	s_nop 0
	v_cndmask_b32_e64 v5, v4, v5, s[2:3]
	v_fma_f32 v4, -v6, v4, v1
	v_cmp_lt_f32_e64 s[2:3], 0, v4
	s_nop 1
	v_cndmask_b32_e64 v4, v5, v6, s[2:3]
	v_mul_f32_e32 v5, 0x37800000, v4
	v_cndmask_b32_e32 v4, v4, v5, vcc
	v_mov_b32_e32 v5, 0x260
	v_cmp_class_f32_e32 vcc, v1, v5
	s_nop 1
	v_cndmask_b32_e32 v12, v4, v1, vcc
                                        ; implicit-def: $vgpr6_vgpr7
	s_and_saveexec_b64 s[2:3], s[0:1]
	s_xor_b64 s[0:1], exec, s[2:3]
	s_cbranch_execz .LBB0_13
; %bb.12:
	s_mov_b32 s2, 0xbdf0ce7a
	s_mov_b32 s3, 0xbf898b3f
	v_pk_add_f32 v[4:5], v[0:1], s[2:3] op_sel_hi:[0,1]
	s_mov_b32 s26, 0x3f898b3f
	v_div_scale_f32 v1, s[2:3], v5, v5, s26
	v_rcp_f32_e32 v6, v1
	s_mov_b32 s27, 0x3df0ce7a
	v_mul_f32_e32 v21, 0x3e8abc3d, v12
	v_fma_f32 v7, -v1, v6, 1.0
	v_fmac_f32_e32 v6, v7, v6
	v_div_scale_f32 v7, vcc, s26, v5, s26
	v_mul_f32_e32 v8, v7, v6
	v_fma_f32 v9, -v1, v8, v7
	v_fmac_f32_e32 v8, v9, v6
	v_fma_f32 v1, -v1, v8, v7
	v_div_scale_f32 v7, s[2:3], v4, v4, s27
	v_rcp_f32_e32 v9, v7
	v_div_fmas_f32 v1, v1, v6, v8
	v_div_fixup_f32 v5, v1, v5, s26
	s_mov_b32 s2, 0xc0458000
	v_fma_f32 v1, -v7, v9, 1.0
	v_fmac_f32_e32 v9, v1, v9
	v_div_scale_f32 v1, vcc, s27, v4, s27
	v_mul_f32_e32 v8, v1, v9
	v_fma_f32 v6, -v7, v8, v1
	v_fmac_f32_e32 v8, v6, v9
	v_fma_f32 v1, -v7, v8, v1
	s_mov_b32 s3, 0xc0cd4577
	v_pk_add_f32 v[6:7], v[0:1], s[2:3] op_sel_hi:[0,1]
	s_mov_b32 s26, 0x40cd4577
	v_div_scale_f32 v13, s[2:3], v7, v7, s26
	v_rcp_f32_e32 v16, v13
	v_div_fmas_f32 v1, v1, v9, v8
	v_div_fixup_f32 v4, v1, v4, s27
	s_mov_b32 s27, 0x40458000
	v_fma_f32 v1, -v13, v16, 1.0
	v_fmac_f32_e32 v16, v1, v16
	v_div_scale_f32 v1, vcc, s26, v7, s26
	v_mul_f32_e32 v8, v1, v16
	v_fma_f32 v9, -v13, v8, v1
	v_fmac_f32_e32 v8, v9, v16
	v_div_scale_f32 v9, s[2:3], v6, v6, s27
	v_fma_f32 v1, -v13, v8, v1
	v_rcp_f32_e32 v13, v9
	v_div_fmas_f32 v1, v1, v16, v8
	v_div_fixup_f32 v7, v1, v7, s26
	v_add_f32_e32 v0, 0xc13cea40, v0
	v_fma_f32 v1, -v9, v13, 1.0
	v_fmac_f32_e32 v13, v1, v13
	v_div_scale_f32 v1, vcc, s27, v6, s27
	v_mul_f32_e32 v8, v1, v13
	v_fma_f32 v16, -v9, v8, v1
	v_fmac_f32_e32 v8, v16, v13
	s_mov_b32 s26, 0x413cea40
	v_fma_f32 v1, -v9, v8, v1
	v_div_scale_f32 v9, s[2:3], v0, v0, s26
	v_rcp_f32_e32 v16, v9
	v_div_fmas_f32 v1, v1, v13, v8
	v_div_fixup_f32 v6, v1, v6, s27
	s_mov_b32 s2, 0x3d1c8fe4
	v_fma_f32 v1, -v9, v16, 1.0
	v_fmac_f32_e32 v16, v1, v16
	v_div_scale_f32 v1, vcc, s26, v0, s26
	v_mul_f32_e32 v8, v1, v16
	v_fma_f32 v13, -v9, v8, v1
	v_fmac_f32_e32 v8, v13, v16
	v_fma_f32 v1, -v9, v8, v1
	v_div_fmas_f32 v1, v1, v16, v8
	s_mov_b32 s3, 0x3ac6b947
	v_div_fixup_f32 v9, v1, v0, s26
	v_pk_mul_f32 v[22:23], v[12:13], s[2:3] op_sel_hi:[0,1]
	v_fmamk_f32 v0, v12, 0xbe8abc3d, v12
	v_sub_f32_e32 v0, v0, v22
	v_sub_f32_e32 v0, v0, v23
	v_mul_f32_e32 v8, 0x3710a439, v12
	v_fmamk_f32 v20, v12, 0xb710a439, v0
                                        ; implicit-def: $vgpr0
                                        ; implicit-def: $vgpr12
.LBB0_13:
	s_andn2_saveexec_b64 s[0:1], s[0:1]
	s_cbranch_execz .LBB0_15
; %bb.14:
	v_mov_b32_e32 v1, 0x40400000
	v_cmp_eq_f32_e32 vcc, 1.0, v0
	v_frexp_mant_f32_e32 v4, v0
	s_mov_b32 s2, 0x3f2aaaab
	v_cndmask_b32_e64 v1, v1, 1.0, vcc
	v_cmp_gt_f32_e32 vcc, s2, v4
	s_mov_b32 s2, 0x3f317218
	s_mov_b32 s26, 0x42b17218
	v_cndmask_b32_e64 v5, 1.0, 2.0, vcc
	v_mul_f32_e32 v4, v4, v5
	v_add_f32_e32 v7, 1.0, v4
	v_rcp_f32_e32 v13, v7
	v_add_f32_e32 v5, -1.0, v7
	v_sub_f32_e32 v9, v4, v5
	v_add_f32_e32 v5, -1.0, v4
	v_mul_f32_e32 v20, v5, v13
	v_mul_f32_e32 v6, v7, v20
	v_fma_f32 v8, v20, v7, -v6
	v_fmac_f32_e32 v8, v20, v9
	v_add_f32_e32 v4, v6, v8
	v_sub_f32_e32 v7, v5, v4
	v_pk_add_f32 v[16:17], v[4:5], v[6:7] neg_lo:[0,1] neg_hi:[0,1]
	v_mov_b32_e32 v9, v4
	v_pk_add_f32 v[4:5], v[16:17], v[8:9] neg_lo:[0,1] neg_hi:[0,1]
	v_mov_b32_e32 v8, 0x3e91f4c4
	v_add_f32_e32 v4, v4, v5
	v_add_f32_e32 v4, v7, v4
	v_mul_f32_e32 v5, v13, v4
	v_add_f32_e32 v4, v20, v5
	v_sub_f32_e32 v6, v4, v20
	v_sub_f32_e32 v13, v5, v6
	v_mul_f32_e32 v5, v4, v4
	v_fma_f32 v7, v4, v4, -v5
	v_add_f32_e32 v6, v13, v13
	v_fmac_f32_e32 v7, v4, v6
	v_add_f32_e32 v6, v5, v7
	v_fmac_f32_e32 v8, 0x3e76c4e1, v6
	v_fmaak_f32 v8, v6, v8, 0x3ecccdef
	v_sub_f32_e32 v5, v6, v5
	v_sub_f32_e32 v22, v7, v5
	v_mul_f32_e32 v5, v6, v8
	v_fma_f32 v7, v6, v8, -v5
	v_fmac_f32_e32 v7, v22, v8
	v_add_f32_e32 v8, v5, v7
	v_add_f32_e32 v9, 0x3f2aaaaa, v8
	v_sub_f32_e32 v5, v8, v5
	v_sub_f32_e32 v5, v7, v5
	v_add_f32_e32 v7, 0xbf2aaaaa, v9
	v_add_f32_e32 v5, 0x31739010, v5
	v_sub_f32_e32 v7, v8, v7
	v_pk_mul_f32 v[16:17], v[4:5], v[6:7]
	v_pk_add_f32 v[20:21], v[4:5], v[6:7]
	v_fma_f32 v8, v6, v4, -v16
	v_fmac_f32_e32 v8, v6, v13
	v_mov_b32_e32 v17, v21
	v_fmac_f32_e32 v8, v22, v4
	v_pk_add_f32 v[6:7], v[16:17], v[8:9]
	v_ldexp_f32 v13, v13, 1
	v_sub_f32_e32 v5, v6, v16
	v_sub_f32_e32 v5, v8, v5
	;; [unrolled: 1-line block ×3, first 2 shown]
	v_add_f32_e32 v17, v21, v8
	v_pk_mul_f32 v[8:9], v[6:7], v[6:7] op_sel:[0,1] op_sel_hi:[1,0]
	v_cvt_f64_f32_e32 v[20:21], v0
	v_frexp_exp_i32_f64_e32 v9, v[20:21]
	v_subbrev_co_u32_e32 v9, vcc, 0, v9, vcc
	v_cvt_f32_i32_e32 v9, v9
	v_fma_f32 v16, v6, v7, -v8
	v_fmac_f32_e32 v16, v6, v17
	v_fmac_f32_e32 v16, v5, v7
	v_mul_f32_e32 v6, 0x3f317218, v9
	v_fma_f32 v5, v9, s2, -v6
	v_fmamk_f32 v20, v9, 0xb102e308, v5
	v_ldexp_f32 v21, v4, 1
	v_add_f32_e32 v7, v8, v16
	v_pk_add_f32 v[4:5], v[6:7], v[20:21]
	v_mov_b32_e32 v22, v7
	v_mov_b32_e32 v23, v5
	;; [unrolled: 1-line block ×3, first 2 shown]
	v_pk_add_f32 v[8:9], v[22:23], v[8:9] neg_lo:[0,1] neg_hi:[0,1]
	v_mov_b32_e32 v17, v7
	v_pk_add_f32 v[8:9], v[16:17], v[8:9] neg_lo:[0,1] neg_hi:[0,1]
	v_mov_b32_e32 v21, v4
	v_add_f32_e32 v7, v13, v8
	v_add_f32_e32 v7, v7, v9
	v_pk_add_f32 v[8:9], v[4:5], v[6:7] neg_lo:[0,1] neg_hi:[0,1]
	v_pk_add_f32 v[16:17], v[4:5], v[6:7]
	v_mov_b32_e32 v6, v7
	v_mov_b32_e32 v9, v17
	v_pk_add_f32 v[22:23], v[20:21], v[8:9] neg_lo:[0,1] neg_hi:[0,1]
	v_pk_add_f32 v[8:9], v[20:21], v[8:9]
	v_mov_b32_e32 v7, v4
	v_pk_add_f32 v[20:21], v[8:9], v[4:5] op_sel:[1,0] op_sel_hi:[0,1] neg_lo:[0,1] neg_hi:[0,1]
	v_pk_add_f32 v[98:99], v[16:17], v[20:21] op_sel_hi:[1,0] neg_lo:[0,1] neg_hi:[0,1]
	v_mov_b32_e32 v16, v17
	v_mov_b32_e32 v17, v9
	v_pk_mov_b32 v[20:21], v[4:5], v[20:21] op_sel:[1,0]
	v_mov_b32_e32 v98, v22
	v_pk_add_f32 v[16:17], v[16:17], v[20:21] neg_lo:[0,1] neg_hi:[0,1]
	v_mov_b32_e32 v23, v9
	v_pk_add_f32 v[4:5], v[6:7], v[16:17] neg_lo:[0,1] neg_hi:[0,1]
	s_movk_i32 s2, 0x204
	v_pk_add_f32 v[6:7], v[98:99], v[4:5]
	s_mov_b32 s27, 0x3fb8aa3b
	v_pk_add_f32 v[16:17], v[6:7], v[6:7] op_sel:[0,1] op_sel_hi:[1,0]
	s_mov_b32 s3, 0x7f800000
	v_pk_add_f32 v[8:9], v[8:9], v[16:17] op_sel:[1,0] op_sel_hi:[0,1]
	v_mov_b32_e32 v7, v8
	v_pk_add_f32 v[20:21], v[6:7], v[22:23] neg_lo:[0,1] neg_hi:[0,1]
	v_mov_b32_e32 v5, v16
	v_sub_f32_e32 v6, v6, v20
	v_pk_add_f32 v[4:5], v[4:5], v[20:21] neg_lo:[0,1] neg_hi:[0,1]
	v_sub_f32_e32 v6, v22, v6
	v_add_f32_e32 v4, v4, v6
	v_add_f32_e32 v4, v4, v5
	;; [unrolled: 1-line block ×3, first 2 shown]
	v_sub_f32_e32 v6, v5, v8
	v_sub_f32_e32 v4, v4, v6
	v_mul_f32_e32 v6, v1, v5
	v_fma_f32 v5, v1, v5, -v6
	v_fmac_f32_e32 v5, v1, v4
	v_add_f32_e32 v1, v6, v5
	v_cmp_class_f32_e64 vcc, v6, s2
	v_sub_f32_e32 v4, v1, v6
	v_sub_f32_e32 v4, v5, v4
	v_cndmask_b32_e32 v1, v1, v6, vcc
	v_mov_b32_e32 v5, 0x37000000
	v_cmp_eq_f32_e32 vcc, s26, v1
	v_mov_b32_e32 v21, 0x42fe1a03
	v_mov_b32_e32 v98, 0xb9dbe18f
	v_cndmask_b32_e32 v5, 0, v5, vcc
	v_sub_f32_e32 v6, v1, v5
	v_mul_f32_e32 v7, 0x3fb8aa3b, v6
	v_fma_f32 v8, v6, s27, -v7
	v_rndne_f32_e32 v9, v7
	v_fmamk_f32 v8, v6, 0x32a5705f, v8
	v_sub_f32_e32 v7, v7, v9
	v_add_f32_e32 v7, v7, v8
	v_exp_f32_e32 v7, v7
	v_cvt_i32_f32_e32 v8, v9
	v_cmp_neq_f32_e64 vcc, |v1|, s3
	s_mov_b32 s3, 0xc2ce8ed0
	v_mov_b32_e32 v99, 0xb814fdf2
	v_cndmask_b32_e32 v1, 0, v4, vcc
	v_ldexp_f32 v4, v7, v8
	v_cmp_ngt_f32_e32 vcc, s3, v6
	s_mov_b32 s3, 0xbfb8aa3b
	v_add_f32_e32 v1, v5, v1
	v_cndmask_b32_e32 v4, 0, v4, vcc
	v_cmp_nlt_f32_e32 vcc, s26, v6
	v_mul_f32_e32 v6, 0xbfb8aa3b, v0
	v_rndne_f32_e32 v7, v6
	v_sub_f32_e32 v8, v6, v7
	v_fma_f32 v6, v0, s3, -v6
	v_fmamk_f32 v6, v0, 0xb2a5705f, v6
	v_add_f32_e32 v6, v8, v6
	v_mov_b32_e32 v5, 0x7f800000
	v_exp_f32_e32 v6, v6
	v_cvt_i32_f32_e32 v7, v7
	v_cndmask_b32_e32 v4, v5, v4, vcc
	v_fma_f32 v1, v4, v1, v4
	v_cmp_class_f32_e64 vcc, v4, s2
	s_mov_b32 s2, 0x42ce8ed0
	s_mov_b32 s26, 0xbdf0ce7a
	v_cndmask_b32_e32 v1, v1, v4, vcc
	v_and_b32_e32 v9, 0x7fffffff, v1
	v_ldexp_f32 v1, v6, v7
	v_cmp_nlt_f32_e32 vcc, s2, v0
	s_mov_b32 s2, 0xc2b17218
	v_mov_b32_e32 v4, 0x4004ac4a
	v_cndmask_b32_e32 v1, 0, v1, vcc
	v_cmp_ngt_f32_e32 vcc, s2, v0
	s_mov_b32 s2, 0xbcc7afde
	s_mov_b32 s3, 0xbe6a5aca
	v_cndmask_b32_e32 v1, v5, v1, vcc
	v_mov_b32_e32 v5, 0x419a8d79
	s_mov_b32 s27, 0xbf898b3f
	v_pk_fma_f32 v[4:5], v[0:1], s[2:3], v[4:5] op_sel_hi:[0,1,1]
	s_mov_b32 s2, 0xc281315e
	v_pk_add_f32 v[6:7], v[0:1], s[26:27] op_sel_hi:[0,1]
	s_mov_b32 s3, 0xc415f195
	s_mov_b32 s26, 0x3f898b3f
	v_pk_fma_f32 v[4:5], v[0:1], v[4:5], s[2:3] op_sel_hi:[0,1,1]
	v_div_scale_f32 v8, s[2:3], v7, v7, s26
	v_rcp_f32_e32 v13, v8
	s_mov_b32 s2, 0x44328a3f
	s_mov_b32 s3, 0x45ced389
	;; [unrolled: 1-line block ×3, first 2 shown]
	v_fma_f32 v16, -v8, v13, 1.0
	v_fmac_f32_e32 v13, v16, v13
	v_div_scale_f32 v16, vcc, s26, v7, s26
	v_mul_f32_e32 v17, v16, v13
	v_fma_f32 v20, -v8, v17, v16
	v_fmac_f32_e32 v17, v20, v13
	v_pk_fma_f32 v[4:5], v[0:1], v[4:5], s[2:3] op_sel_hi:[0,1,1]
	v_fma_f32 v8, -v8, v17, v16
	v_div_scale_f32 v16, s[2:3], v6, v6, s27
	v_rcp_f32_e32 v20, v16
	v_div_fmas_f32 v8, v8, v13, v17
	v_div_fixup_f32 v7, v8, v7, s26
	s_mov_b32 s2, 0xbf31eeff
	v_fma_f32 v8, -v16, v20, 1.0
	v_fmac_f32_e32 v20, v8, v20
	v_div_scale_f32 v8, vcc, s27, v6, s27
	v_mul_f32_e32 v13, v8, v20
	v_fma_f32 v17, -v16, v13, v8
	v_fmac_f32_e32 v13, v17, v20
	v_fma_f32 v8, -v16, v13, v8
	v_div_fmas_f32 v8, v8, v20, v13
	v_div_fixup_f32 v6, v8, v6, s27
	s_mov_b32 s3, 0xbfca554c
	s_mov_b32 s26, 0xc0458000
	v_mov_b32_e32 v20, 0x4266bfe8
	s_mov_b32 s27, 0xc0cd4577
	v_pk_fma_f32 v[20:21], v[0:1], s[2:3], v[20:21] op_sel_hi:[0,1,1]
	s_mov_b32 s2, 0xc4de2153
	v_pk_add_f32 v[16:17], v[0:1], s[26:27] op_sel_hi:[0,1]
	s_mov_b32 s3, 0xc571adfa
	s_mov_b32 s26, 0x40cd4577
	v_pk_fma_f32 v[20:21], v[0:1], v[20:21], s[2:3] op_sel_hi:[0,1,1]
	v_div_scale_f32 v8, s[2:3], v17, v17, s26
	v_rcp_f32_e32 v13, v8
	s_mov_b32 s2, 0x4698a137
	s_mov_b32 s3, 0x47253e7c
	;; [unrolled: 1-line block ×3, first 2 shown]
	v_fma_f32 v22, -v8, v13, 1.0
	v_fmac_f32_e32 v13, v22, v13
	v_div_scale_f32 v22, vcc, s26, v17, s26
	v_mul_f32_e32 v23, v22, v13
	v_fma_f32 v97, -v8, v23, v22
	v_fmac_f32_e32 v23, v97, v13
	v_pk_fma_f32 v[20:21], v[0:1], v[20:21], s[2:3] op_sel_hi:[0,1,1]
	v_fma_f32 v8, -v8, v23, v22
	v_div_scale_f32 v22, s[2:3], v16, v16, s27
	v_rcp_f32_e32 v97, v22
	v_div_fmas_f32 v8, v8, v13, v23
	v_div_fixup_f32 v17, v8, v17, s26
	s_mov_b32 s2, 0x36221549
	v_fma_f32 v8, -v22, v97, 1.0
	v_fmac_f32_e32 v97, v8, v97
	v_div_scale_f32 v8, vcc, s27, v16, s27
	v_mul_f32_e32 v13, v8, v97
	v_fma_f32 v23, -v22, v13, v8
	v_fmac_f32_e32 v13, v23, v97
	v_fma_f32 v8, -v22, v13, v8
	v_div_fmas_f32 v8, v8, v97, v13
	v_div_fixup_f32 v16, v8, v16, s27
	v_mov_b32_e32 v8, 0x437bd497
	v_fmac_f32_e32 v8, 0xc055bca2, v0
	v_fmaak_f32 v8, v0, v8, 0xc5ecca48
	v_fmaak_f32 v13, v0, v8, 0x47a08a57
	v_mov_b32_e32 v8, 0xb4aff1cc
	v_fmac_f32_e32 v8, 0x3268c1ce, v0
	v_mul_f32_e32 v22, v0, v8
	v_mov_b32_e32 v23, v0
	s_mov_b32 s3, 0xc13cea40
	v_pk_add_f32 v[22:23], v[22:23], s[2:3]
	s_mov_b32 s2, 0x3761bbe5
	s_mov_b32 s3, 0x35a5b5f0
	v_pk_fma_f32 v[98:99], v[0:1], s[2:3], v[98:99] op_sel_hi:[0,1,1]
	s_mov_b32 s2, 0x3b7e1663
	v_mov_b32_e32 v8, 0xba34432f
	s_mov_b32 s3, 0x399f00d6
	v_fmac_f32_e32 v8, 0x37afc644, v0
	v_pk_fma_f32 v[98:99], v[0:1], v[98:99], s[2:3] op_sel_hi:[0,1,1]
	v_pk_mul_f32 v[0:1], v[0:1], v[8:9]
	s_mov_b32 s28, 0x413cea40
	v_pk_fma_f32 v[4:5], v[4:5], v[0:1], v[6:7] op_sel:[0,1,0]
	v_pk_fma_f32 v[6:7], v[20:21], v[0:1], v[16:17] op_sel:[0,1,0]
	v_div_scale_f32 v20, s[2:3], v23, v23, s28
	v_rcp_f32_e32 v21, v20
	v_mov_b32_e32 v8, 0x3bdb224c
	v_pk_mul_f32 v[16:17], v[8:9], v[0:1]
	s_mov_b32 s26, 0x3d1c8fe4
	v_pk_mul_f32 v[8:9], v[16:17], v[22:23] op_sel:[1,0] op_sel_hi:[0,1]
	v_fma_f32 v9, -v20, v21, 1.0
	v_fmac_f32_e32 v21, v9, v21
	v_div_scale_f32 v9, vcc, s28, v23, s28
	v_mul_f32_e32 v22, v9, v21
	v_fma_f32 v97, -v20, v22, v9
	v_fmac_f32_e32 v22, v97, v21
	v_fma_f32 v9, -v20, v22, v9
	v_div_fmas_f32 v9, v9, v21, v22
	v_div_fixup_f32 v9, v9, v23, s28
	v_mov_b32_e32 v20, 0x3710a439
	v_mov_b32_e32 v21, v1
	s_mov_b32 s27, 0x3ac6b947
	v_pk_fma_f32 v[8:9], v[12:13], v[20:21], v[8:9]
	v_add_f32_e32 v13, 0x3bdb224c, v0
	v_pk_mul_f32 v[0:1], v[98:99], v[16:17] op_sel:[0,1]
	v_mov_b32_e32 v16, 0x3e8abc3d
	v_pk_fma_f32 v[22:23], v[12:13], s[26:27], v[0:1] op_sel_hi:[0,1,1]
	v_pk_mul_f32 v[0:1], v[12:13], v[16:17]
	s_nop 0
	v_add_f32_e32 v21, v0, v1
	v_sub_f32_e32 v0, v12, v21
	v_sub_f32_e32 v0, v0, v22
	;; [unrolled: 1-line block ×4, first 2 shown]
.LBB0_15:
	s_or_b64 exec, exec, s[0:1]
                                        ; implicit-def: $vgpr0
.LBB0_16:
	s_andn2_saveexec_b64 s[2:3], s[24:25]
	s_cbranch_execz .LBB0_18
; %bb.17:
	s_mov_b32 s24, 0x3f490fdb
	v_div_scale_f32 v1, s[0:1], v0, v0, s24
	v_rcp_f32_e32 v4, v1
	v_div_scale_f32 v5, vcc, s24, v0, s24
	s_mov_b32 s0, 0xf800000
	v_fma_f32 v6, -v1, v4, 1.0
	v_fmac_f32_e32 v4, v6, v4
	v_mul_f32_e32 v6, v5, v4
	v_fma_f32 v7, -v1, v6, v5
	v_fmac_f32_e32 v6, v7, v4
	v_fma_f32 v1, -v1, v6, v5
	v_div_fmas_f32 v1, v1, v4, v6
	v_div_fixup_f32 v1, v1, v0, s24
	v_mul_f32_e32 v4, 0x4f800000, v1
	v_cmp_gt_f32_e32 vcc, s0, v1
	s_mov_b32 s24, 0xbdf0ce7a
	s_mov_b32 s25, 0xbf898b3f
	v_cndmask_b32_e32 v1, v1, v4, vcc
	v_sqrt_f32_e32 v4, v1
	s_nop 0
	v_add_u32_e32 v5, -1, v4
	v_fma_f32 v6, -v5, v4, v1
	v_cmp_ge_f32_e64 s[0:1], 0, v6
	v_add_u32_e32 v6, 1, v4
	s_nop 0
	v_cndmask_b32_e64 v5, v4, v5, s[0:1]
	v_fma_f32 v4, -v6, v4, v1
	v_cmp_lt_f32_e64 s[0:1], 0, v4
	s_nop 1
	v_cndmask_b32_e64 v4, v5, v6, s[0:1]
	v_mul_f32_e32 v5, 0x37800000, v4
	v_cndmask_b32_e32 v4, v4, v5, vcc
	v_mul_f32_e32 v5, 0xbfb8aa3b, v0
	s_mov_b32 s0, 0xbfb8aa3b
	v_rndne_f32_e32 v6, v5
	v_sub_f32_e32 v7, v5, v6
	v_fma_f32 v5, v0, s0, -v5
	v_fmamk_f32 v5, v0, 0xb2a5705f, v5
	v_add_f32_e32 v5, v7, v5
	v_exp_f32_e32 v5, v5
	v_cvt_i32_f32_e32 v6, v6
	v_mov_b32_e32 v7, 0x260
	v_cmp_class_f32_e32 vcc, v1, v7
	s_mov_b32 s0, 0x42ce8ed0
	v_mov_b32_e32 v7, 0x3a909d07
	v_cndmask_b32_e32 v12, v4, v1, vcc
	v_ldexp_f32 v1, v5, v6
	v_cmp_nlt_f32_e32 vcc, s0, v0
	s_mov_b32 s0, 0xc2b17218
	v_mov_b32_e32 v6, 0x38fb7e46
	v_cndmask_b32_e32 v1, 0, v1, vcc
	v_cmp_ngt_f32_e32 vcc, s0, v0
	s_mov_b32 s0, 0xb5e8af67
	s_mov_b32 s1, 0xb7864dc2
	v_pk_fma_f32 v[6:7], v[0:1], s[0:1], v[6:7] op_sel_hi:[0,1,1]
	s_mov_b32 s0, 0xbc829c7e
	s_mov_b32 s1, 0xbe19a50c
	v_pk_fma_f32 v[6:7], v[0:1], v[6:7], s[0:1] op_sel_hi:[0,1,1]
	;; [unrolled: 3-line block ×5, first 2 shown]
	s_mov_b32 s0, 0xc66d9d91
	s_mov_b32 s1, 0xc804b404
	v_mov_b32_e32 v4, 0x7f800000
	v_pk_fma_f32 v[6:7], v[0:1], v[6:7], s[0:1] op_sel_hi:[0,1,1]
	s_mov_b32 s0, 0x47ebab72
	v_cndmask_b32_e32 v16, v4, v1, vcc
	v_pk_add_f32 v[4:5], v[0:1], s[24:25] op_sel_hi:[0,1]
	s_mov_b32 s1, 0x4981869e
	s_mov_b32 s24, 0x3f898b3f
	v_pk_fma_f32 v[6:7], v[0:1], v[6:7], s[0:1] op_sel_hi:[0,1,1]
	v_div_scale_f32 v1, s[0:1], v5, v5, s24
	v_rcp_f32_e32 v8, v1
	s_mov_b32 s0, 0xc8c6d24c
	s_mov_b32 s1, 0xca565990
	;; [unrolled: 1-line block ×3, first 2 shown]
	v_fma_f32 v9, -v1, v8, 1.0
	v_fmac_f32_e32 v8, v9, v8
	v_div_scale_f32 v9, vcc, s24, v5, s24
	v_mul_f32_e32 v13, v9, v8
	v_fma_f32 v17, -v1, v13, v9
	v_fmac_f32_e32 v13, v17, v8
	v_pk_fma_f32 v[6:7], v[0:1], v[6:7], s[0:1] op_sel_hi:[0,1,1]
	v_fma_f32 v1, -v1, v13, v9
	v_div_scale_f32 v9, s[0:1], v4, v4, s25
	v_rcp_f32_e32 v17, v9
	v_div_fmas_f32 v1, v1, v8, v13
	v_div_fixup_f32 v5, v1, v5, s24
	s_mov_b32 s0, 0xb83c4620
	v_fma_f32 v1, -v9, v17, 1.0
	v_fmac_f32_e32 v17, v1, v17
	v_div_scale_f32 v1, vcc, s25, v4, s25
	v_mul_f32_e32 v8, v1, v17
	v_fma_f32 v13, -v9, v8, v1
	v_fmac_f32_e32 v8, v13, v17
	v_fma_f32 v1, -v9, v8, v1
	v_div_fmas_f32 v1, v1, v17, v8
	s_mov_b32 s1, 0xb885e8a0
	v_mov_b32_e32 v8, 0x3b304eed
	v_mov_b32_e32 v9, 0xbb16400c
	v_pk_fma_f32 v[8:9], v[0:1], s[0:1], v[8:9] op_sel_hi:[0,1,1]
	s_mov_b32 s0, 0xbecd562e
	s_mov_b32 s1, 0xbd9cd29e
	v_pk_fma_f32 v[8:9], v[0:1], v[8:9], s[0:1] op_sel_hi:[0,1,1]
	s_mov_b32 s0, 0x41deb022
	s_mov_b32 s1, 0x411207e1
	;; [unrolled: 3-line block ×4, first 2 shown]
	v_pk_fma_f32 v[8:9], v[0:1], v[8:9], s[0:1] op_sel_hi:[0,1,1]
	s_mov_b32 s0, 0xc89c0214
	v_div_fixup_f32 v4, v1, v4, s25
	s_mov_b32 s24, 0xc0458000
	s_mov_b32 s1, 0x47bb687c
	;; [unrolled: 1-line block ×3, first 2 shown]
	v_pk_fma_f32 v[8:9], v[0:1], v[8:9], s[0:1] op_sel_hi:[0,1,1]
	s_mov_b32 s0, 0x4a0f5bf4
	v_pk_fma_f32 v[4:5], v[16:17], v[6:7], v[4:5] op_sel_hi:[0,1,1]
	v_pk_add_f32 v[6:7], v[0:1], s[24:25] op_sel_hi:[0,1]
	s_mov_b32 s1, 0xc9d8d82d
	s_mov_b32 s24, 0x40cd4577
	v_pk_fma_f32 v[8:9], v[0:1], v[8:9], s[0:1] op_sel_hi:[0,1,1]
	v_div_scale_f32 v1, s[0:1], v7, v7, s24
	v_rcp_f32_e32 v13, v1
	s_mov_b32 s0, 0xcada9c2f
	s_mov_b32 s1, 0x4b1c6310
	;; [unrolled: 1-line block ×3, first 2 shown]
	v_fma_f32 v17, -v1, v13, 1.0
	v_fmac_f32_e32 v13, v17, v13
	v_div_scale_f32 v17, vcc, s24, v7, s24
	v_mul_f32_e32 v20, v17, v13
	v_fma_f32 v21, -v1, v20, v17
	v_fmac_f32_e32 v20, v21, v13
	v_pk_fma_f32 v[8:9], v[0:1], v[8:9], s[0:1] op_sel_hi:[0,1,1]
	v_fma_f32 v1, -v1, v20, v17
	v_div_scale_f32 v17, s[0:1], v6, v6, s25
	v_rcp_f32_e32 v21, v17
	v_div_fmas_f32 v1, v1, v13, v20
	v_div_fixup_f32 v7, v1, v7, s24
	s_mov_b32 s24, 0x413cea40
	v_fma_f32 v1, -v17, v21, 1.0
	v_fmac_f32_e32 v21, v1, v21
	v_div_scale_f32 v1, vcc, s25, v6, s25
	v_mul_f32_e32 v13, v1, v21
	v_fma_f32 v20, -v17, v13, v1
	v_fmac_f32_e32 v13, v20, v21
	v_fma_f32 v1, -v17, v13, v1
	v_div_fmas_f32 v1, v1, v21, v13
	v_div_fixup_f32 v6, v1, v6, s25
	v_mov_b32_e32 v1, 0xbcb91c15
	v_fmac_f32_e32 v1, 0xb81698a2, v0
	v_pk_fma_f32 v[6:7], v[16:17], v[8:9], v[6:7] op_sel_hi:[0,1,1]
	v_fmaak_f32 v1, v0, v1, 0x3f901f16
	v_add_f32_e32 v8, 0xc13cea40, v0
	v_fmaak_f32 v1, v0, v1, 0xc236b374
	v_div_scale_f32 v13, s[0:1], v8, v8, s24
	v_fmaak_f32 v1, v0, v1, 0x44844173
	v_rcp_f32_e32 v17, v13
	v_fmaak_f32 v1, v0, v1, 0xc6354148
	v_fmaak_f32 v1, v0, v1, 0xc71f19c3
	;; [unrolled: 1-line block ×4, first 2 shown]
	v_fma_f32 v1, -v13, v17, 1.0
	v_fmac_f32_e32 v17, v1, v17
	v_div_scale_f32 v1, vcc, s24, v8, s24
	v_mul_f32_e32 v20, v1, v17
	v_fma_f32 v21, -v13, v20, v1
	v_fmac_f32_e32 v20, v21, v17
	v_fma_f32 v1, -v13, v20, v1
	v_div_fmas_f32 v1, v1, v17, v20
	v_div_fixup_f32 v21, v1, v8, s24
	v_mov_b32_e32 v1, 0x34199ec3
	v_fmac_f32_e32 v1, 0xaffd7e2f, v0
	v_fmaak_f32 v1, v0, v1, 0xb7898a57
	v_fmaak_f32 v1, v0, v1, 0x3a97c510
	;; [unrolled: 1-line block ×8, first 2 shown]
	v_mul_f32_e32 v20, v16, v1
	v_mov_b32_e32 v13, v16
	v_mov_b32_e32 v8, 0x3710a439
	v_pk_fma_f32 v[8:9], v[12:13], v[8:9], v[20:21]
	v_mov_b32_e32 v21, 0x370855d6
	s_mov_b32 s0, 0xbacaf300
	v_fmac_f32_e32 v21, 0xb2ced85b, v0
	v_mov_b32_e32 v20, 0x3799fe51
	s_mov_b32 s1, 0xba6d1b64
	v_pk_fma_f32 v[20:21], v[0:1], v[20:21], s[0:1] op_sel_hi:[0,1,1]
	s_mov_b32 s0, 0x3df2bada
	s_mov_b32 s1, 0x3d829922
	v_pk_fma_f32 v[20:21], v[0:1], v[20:21], s[0:1] op_sel_hi:[0,1,1]
	s_mov_b32 s0, 0xc0d649ba
	;; [unrolled: 3-line block ×7, first 2 shown]
	s_mov_b32 s1, 0x4911b76c
	v_pk_fma_f32 v[20:21], v[0:1], v[20:21], s[0:1] op_sel_hi:[0,1,1]
	v_mov_b32_e32 v1, 0xbb120983
	v_fmac_f32_e32 v1, 0x37e90472, v0
	v_fmaak_f32 v1, v0, v1, 0x3e24f189
	v_fmaak_f32 v1, v0, v1, 0xc10f7aa0
	s_mov_b32 s0, 0x3d1c8fe4
	v_fmaak_f32 v1, v0, v1, 0x43a40806
	v_pk_mul_f32 v[20:21], v[16:17], v[20:21] op_sel_hi:[0,1]
	s_mov_b32 s1, 0x3ac6b947
	v_fmaak_f32 v1, v0, v1, 0xc5ef49d1
	v_pk_fma_f32 v[22:23], v[12:13], s[0:1], v[20:21] op_sel_hi:[0,1,1]
	v_fmaak_f32 v1, v0, v1, 0x47d75787
	s_mov_b32 s0, 0x3ca0ba1f
	v_fmaak_f32 v1, v0, v1, 0xc959e702
	v_mov_b32_e32 v17, v12
	s_mov_b32 s1, 0x3e8abc3d
	v_fmaak_f32 v0, v0, v1, 0x4a3d9949
	v_pk_mul_f32 v[20:21], v[16:17], s[0:1]
	s_nop 0
	v_sub_f32_e32 v1, v12, v20
	v_fmac_f32_e32 v21, v16, v0
	v_sub_f32_e32 v0, v1, v21
	v_sub_f32_e32 v0, v0, v22
	;; [unrolled: 1-line block ×4, first 2 shown]
.LBB0_18:
	s_or_b64 exec, exec, s[2:3]
                                        ; implicit-def: $vgpr0
.LBB0_19:
	s_andn2_saveexec_b64 s[0:1], s[22:23]
	s_cbranch_execz .LBB0_21
; %bb.20:
	v_add_f32_e32 v0, 0xc1b40000, v0
	v_mov_b32_e32 v5, 0xa85c4f36
	s_mov_b32 s2, 0x26a42ff5
	v_mov_b32_e32 v6, 0x280532ff
	v_fmac_f32_e32 v5, 0x25a7199c, v0
	v_mov_b32_e32 v4, 0x26a42ff5
	v_pk_fma_f32 v[6:7], v[0:1], s[2:3], v[6:7] neg_lo:[1,0,0] neg_hi:[1,0,0]
	s_mov_b32 s3, 0x298b40b5
	v_pk_fma_f32 v[4:5], v[0:1], v[4:5], s[2:3] op_sel_hi:[0,1,1]
	s_mov_b32 s2, 0x2a22cd9f
	v_mov_b32_e32 v7, v5
	s_mov_b32 s3, 0x2be831fd
	v_pk_fma_f32 v[4:5], v[0:1], v[6:7], s[2:3] op_sel_hi:[0,1,1]
	s_mov_b32 s2, 0xac3c5b33
	s_mov_b32 s3, 0xadf01bb1
	v_pk_fma_f32 v[4:5], v[0:1], v[4:5], s[2:3] op_sel_hi:[0,1,1]
	s_mov_b32 s2, 0x2ccce59f
	s_mov_b32 s3, 0x2e2329ea
	v_pk_fma_f32 v[4:5], v[0:1], v[4:5], s[2:3] op_sel_hi:[0,1,1]
	s_mov_b32 s2, 0x2f6ee295
	s_mov_b32 s3, 0x311850d7
	v_pk_fma_f32 v[4:5], v[0:1], v[4:5], s[2:3] op_sel_hi:[0,1,1]
	s_mov_b32 s2, 0x3174cec8
	s_mov_b32 s3, 0x33464338
	v_pk_fma_f32 v[4:5], v[0:1], v[4:5], s[2:3] op_sel_hi:[0,1,1]
	s_mov_b32 s2, 0xb4a314f8
	s_mov_b32 s3, 0xb65f0e7f
	v_pk_fma_f32 v[4:5], v[0:1], v[4:5], s[2:3] op_sel_hi:[0,1,1]
	s_mov_b32 s2, 0x371edb4a
	s_mov_b32 s3, 0x38ce7e31
	v_pk_fma_f32 v[4:5], v[0:1], v[4:5], s[2:3] op_sel_hi:[0,1,1]
	s_mov_b32 s2, 0xb9721ce0
	s_mov_b32 s3, 0xbb16cb0d
	v_pk_fma_f32 v[4:5], v[0:1], v[4:5], s[2:3] op_sel_hi:[0,1,1]
	s_mov_b32 s2, 0x3babec00
	s_mov_b32 s3, 0x3d4d256d
	v_pk_fma_f32 v[4:5], v[0:1], v[4:5], s[2:3] op_sel_hi:[0,1,1]
	s_mov_b32 s2, 0x270e00c0
	s_mov_b32 s3, 0x2870bf87
	v_mov_b32_e32 v6, 0xa95c6a33
	v_mov_b32_e32 v7, 0xaa2f78e1
	v_pk_fma_f32 v[6:7], v[0:1], s[2:3], v[6:7] op_sel_hi:[0,1,1]
	s_mov_b32 s2, 0x29ffe8d7
	s_mov_b32 s3, 0xab53bedb
	v_pk_fma_f32 v[6:7], v[0:1], v[6:7], s[2:3] op_sel_hi:[0,1,1]
	s_mov_b32 s2, 0x2d04c115
	s_mov_b32 s3, 0x2e0d27fe
	;; [unrolled: 3-line block ×11, first 2 shown]
	v_mov_b32_e32 v8, 0x29e22b1a
	v_pk_fma_f32 v[8:9], v[0:1], s[2:3], v[8:9] neg_lo:[1,0,0] neg_hi:[1,0,0]
	v_mov_b32_e32 v1, 0xa990e2e4
	v_pk_fma_f32 v[12:13], v[0:1], s[2:3], v[0:1] op_sel_hi:[0,1,1]
	s_mov_b32 s2, 0x2b5c09f0
	v_mov_b32_e32 v9, v13
	s_mov_b32 s3, 0xaa84c8f2
	v_pk_fma_f32 v[8:9], v[0:1], v[8:9], s[2:3] op_sel_hi:[0,1,1]
	s_mov_b32 s2, 0xade0174a
	s_mov_b32 s3, 0x2d1155b5
	v_pk_fma_f32 v[8:9], v[0:1], v[8:9], s[2:3] op_sel_hi:[0,1,1]
	s_mov_b32 s2, 0x2f22a733
	;; [unrolled: 3-line block ×8, first 2 shown]
	s_mov_b32 s3, 0x3d4f819f
	v_pk_fma_f32 v[20:21], v[0:1], v[8:9], s[2:3] op_sel_hi:[0,1,1]
	v_mov_b32_e32 v1, 0xa2352a85
	v_fmac_f32_e32 v1, 0xa21e6225, v0
	s_mov_b32 s2, 0xa966819a
	v_fmaak_f32 v9, v0, v1, 0x26309378
	v_mov_b32_e32 v8, 0x278feb72
	s_mov_b32 s3, 0xa8199a3d
	v_pk_fma_f32 v[8:9], v[0:1], v[8:9], s[2:3] op_sel_hi:[0,1,1]
	s_mov_b32 s2, 0xa93b3dc9
	s_mov_b32 s3, 0x29595f53
	v_pk_fma_f32 v[8:9], v[0:1], v[8:9], s[2:3] op_sel_hi:[0,1,1]
	s_mov_b32 s2, 0x2c944a61
	s_mov_b32 s3, 0xaabf26ea
	v_pk_fma_f32 v[8:9], v[0:1], v[8:9], s[2:3] op_sel_hi:[0,1,1]
	s_mov_b32 s2, 0x2e937513
	s_mov_b32 s3, 0x2d92f4ff
	v_pk_fma_f32 v[8:9], v[0:1], v[8:9], s[2:3] op_sel_hi:[0,1,1]
	s_mov_b32 s2, 0xb166f4f2
	s_mov_b32 s3, 0xaff35c8b
	v_pk_fma_f32 v[8:9], v[0:1], v[8:9], s[2:3] op_sel_hi:[0,1,1]
	s_mov_b32 s2, 0x3382731e
	s_mov_b32 s3, 0x31e8bded
	v_pk_fma_f32 v[8:9], v[0:1], v[8:9], s[2:3] op_sel_hi:[0,1,1]
	s_mov_b32 s2, 0xb546d701
	s_mov_b32 s3, 0xb397147a
	v_pk_fma_f32 v[8:9], v[0:1], v[8:9], s[2:3] op_sel_hi:[0,1,1]
	s_mov_b32 s2, 0x37145716
	s_mov_b32 s3, 0x352266d3
	v_pk_fma_f32 v[8:9], v[0:1], v[8:9], s[2:3] op_sel_hi:[0,1,1]
	s_mov_b32 s2, 0xb934f107
	s_mov_b32 s3, 0xb702f496
	v_pk_fma_f32 v[8:9], v[0:1], v[8:9], s[2:3] op_sel_hi:[0,1,1]
	s_mov_b32 s2, 0x3bead41b
	s_mov_b32 s3, 0x3995ec34
	v_pk_fma_f32 v[22:23], v[0:1], v[8:9], s[2:3] op_sel_hi:[0,1,1]
	v_mov_b32_e32 v1, 0x1fa36fde
	v_fmac_f32_e32 v1, 0x9dd50ccf, v0
	v_fmaak_f32 v8, v0, v1, 0xa1ea30d0
	v_mov_b32_e32 v9, 0x2988b248
	s_mov_b32 s2, 0x241ad803
	v_pk_fma_f32 v[12:13], v[0:1], v[8:9], s[2:3]
	s_mov_b32 s3, 0x2b92ff2d
	v_pk_fma_f32 v[8:9], v[0:1], v[8:9], s[2:3] op_sel_hi:[0,1,1] neg_lo:[1,0,0] neg_hi:[1,0,0]
	s_mov_b32 s2, 0xa60aa5a4
	v_mov_b32_e32 v13, v9
	s_mov_b32 s3, 0xaaf150ac
	v_pk_fma_f32 v[8:9], v[0:1], v[12:13], s[2:3] op_sel_hi:[0,1,1]
	s_mov_b32 s2, 0x27c20ff7
	s_mov_b32 s3, 0xaf90b30a
	v_pk_fma_f32 v[8:9], v[0:1], v[8:9], s[2:3] op_sel_hi:[0,1,1]
	s_mov_b32 s2, 0xa989c344
	;; [unrolled: 3-line block ×9, first 2 shown]
	s_mov_b32 s3, 0x3f8c9e35
	v_pk_fma_f32 v[8:9], v[0:1], v[8:9], s[2:3] op_sel_hi:[0,1,1]
.LBB0_21:
	s_or_b64 exec, exec, s[0:1]
                                        ; implicit-def: $vgpr0
.LBB0_22:
	s_andn2_saveexec_b64 s[0:1], s[20:21]
	s_cbranch_execz .LBB0_24
; %bb.23:
	s_mov_b32 s2, 0x255d37bb
	v_add_f32_e32 v0, 0xc18c0000, v0
	s_mov_b32 s3, 0x27121e07
	v_mov_b32_e32 v4, 0x2661d98f
	v_mov_b32_e32 v5, 0x28371982
	v_pk_fma_f32 v[4:5], v[0:1], s[2:3], v[4:5] op_sel_hi:[0,1,1]
	s_mov_b32 s2, 0xa912db57
	s_mov_b32 s3, 0xaabe943b
	v_pk_fma_f32 v[4:5], v[0:1], v[4:5], s[2:3] op_sel_hi:[0,1,1]
	s_mov_b32 s2, 0xaa059dcc
	s_mov_b32 s3, 0xabe36223
	;; [unrolled: 3-line block ×10, first 2 shown]
	v_pk_fma_f32 v[4:5], v[0:1], v[4:5], s[2:3] op_sel_hi:[0,1,1]
	v_mov_b32_e32 v7, 0x28aee06f
	s_mov_b32 s2, 0x2987366b
	v_fmac_f32_e32 v7, 0xa752b1bb, v0
	v_mov_b32_e32 v6, 0x280c7c45
	s_mov_b32 s3, 0x2b08c803
	v_pk_fma_f32 v[6:7], v[0:1], v[6:7], s[2:3] op_sel_hi:[0,1,1]
	s_mov_b32 s2, 0xabafe40f
	s_mov_b32 s3, 0xac62646a
	v_pk_fma_f32 v[6:7], v[0:1], v[6:7], s[2:3] op_sel_hi:[0,1,1]
	s_mov_b32 s2, 0xad33912c
	;; [unrolled: 3-line block ×11, first 2 shown]
	s_mov_b32 s3, 0x26a0414f
	v_mov_b32_e32 v8, 0xa6488387
	v_pk_fma_f32 v[8:9], v[0:1], s[2:3], v[8:9]
	v_mov_b32_e32 v1, 0x27054fe0
	v_pk_fma_f32 v[12:13], v[0:1], s[2:3], v[0:1] op_sel_hi:[0,1,1] neg_lo:[1,0,0] neg_hi:[1,0,0]
	s_mov_b32 s2, 0xaaa8ec10
	v_mov_b32_e32 v9, v13
	s_mov_b32 s3, 0x2a096dcd
	v_pk_fma_f32 v[8:9], v[0:1], v[8:9], s[2:3] op_sel_hi:[0,1,1]
	s_mov_b32 s2, 0x2a63936d
	s_mov_b32 s3, 0x2bb3732b
	v_pk_fma_f32 v[8:9], v[0:1], v[8:9], s[2:3] op_sel_hi:[0,1,1]
	s_mov_b32 s2, 0x2e297ba5
	;; [unrolled: 3-line block ×9, first 2 shown]
	s_mov_b32 s3, 0x3d6cc0bb
	v_pk_fma_f32 v[20:21], v[0:1], v[8:9], s[2:3] op_sel_hi:[0,1,1]
	v_mov_b32_e32 v9, 0xa5c6c9ae
	s_mov_b32 s2, 0x2688e20b
	v_mov_b32_e32 v12, 0x27f0a4f0
	v_fmac_f32_e32 v9, 0x2376df6b, v0
	v_mov_b32_e32 v8, 0x2688e20b
	v_pk_fma_f32 v[12:13], v[0:1], s[2:3], v[12:13] neg_lo:[1,0,0] neg_hi:[1,0,0]
	s_mov_b32 s3, 0x27aaf4fd
	v_pk_fma_f32 v[8:9], v[0:1], v[8:9], s[2:3] op_sel_hi:[0,1,1]
	s_mov_b32 s2, 0x273bcb3b
	v_mov_b32_e32 v13, v9
	s_mov_b32 s3, 0xa987de92
	v_pk_fma_f32 v[8:9], v[0:1], v[12:13], s[2:3] op_sel_hi:[0,1,1]
	s_mov_b32 s2, 0x2c0b98f6
	s_mov_b32 s3, 0x2b93ab6f
	v_pk_fma_f32 v[8:9], v[0:1], v[8:9], s[2:3] op_sel_hi:[0,1,1]
	s_mov_b32 s2, 0xae6d84c5
	;; [unrolled: 3-line block ×9, first 2 shown]
	s_mov_b32 s3, 0x39ba0ac1
	v_pk_fma_f32 v[22:23], v[0:1], v[8:9], s[2:3] op_sel_hi:[0,1,1]
	v_mov_b32_e32 v1, 0xa0fac7b0
	v_fmac_f32_e32 v1, 0x1efe73e4, v0
	s_mov_b32 s2, 0xa4d12232
	v_fmaak_f32 v8, v0, v1, 0x22de7c76
	v_mov_b32_e32 v9, 0x285486e3
	s_mov_b32 s3, 0x2a0bc999
	v_pk_fma_f32 v[8:9], v[0:1], v[8:9], s[2:3] op_sel_hi:[0,1,1]
	s_mov_b32 s2, 0x26b3a764
	s_mov_b32 s3, 0xac88f6b3
	v_pk_fma_f32 v[8:9], v[0:1], v[8:9], s[2:3] op_sel_hi:[0,1,1]
	s_mov_b32 s2, 0xa88d4c73
	;; [unrolled: 3-line block ×11, first 2 shown]
	s_mov_b32 s3, 0x3ff33329
	v_pk_fma_f32 v[8:9], v[0:1], v[8:9], s[2:3] op_sel_hi:[0,1,1]
.LBB0_24:
	s_or_b64 exec, exec, s[0:1]
                                        ; implicit-def: $vgpr0
.LBB0_25:
	s_andn2_saveexec_b64 s[0:1], s[18:19]
	s_cbranch_execz .LBB0_27
; %bb.26:
	s_mov_b32 s2, 0xa440066a
	v_add_f32_e32 v0, 0xc1480000, v0
	s_mov_b32 s3, 0xa6038377
	v_mov_b32_e32 v4, 0x264fc70a
	v_mov_b32_e32 v5, 0x27e128b1
	v_pk_fma_f32 v[4:5], v[0:1], s[2:3], v[4:5] op_sel_hi:[0,1,1]
	s_mov_b32 s2, 0x287b7ada
	s_mov_b32 s3, 0x2a43ab74
	v_pk_fma_f32 v[4:5], v[0:1], v[4:5], s[2:3] op_sel_hi:[0,1,1]
	s_mov_b32 s2, 0x2924da84
	s_mov_b32 s3, 0x29c9db21
	;; [unrolled: 3-line block ×11, first 2 shown]
	v_mov_b32_e32 v6, 0x28c0afef
	v_mov_b32_e32 v7, 0x27c1c7be
	v_pk_fma_f32 v[6:7], v[0:1], s[2:3], v[6:7] op_sel_hi:[0,1,1]
	s_mov_b32 s2, 0x2b5dec6d
	s_mov_b32 s3, 0x2b7c3992
	v_pk_fma_f32 v[6:7], v[0:1], v[6:7], s[2:3] op_sel_hi:[0,1,1]
	s_mov_b32 s2, 0xab7dfc70
	s_mov_b32 s3, 0x2e655226
	;; [unrolled: 3-line block ×10, first 2 shown]
	v_pk_fma_f32 v[6:7], v[0:1], v[6:7], s[2:3] op_sel_hi:[0,1,1]
	v_mov_b32_e32 v9, 0x28b14fc3
	s_mov_b32 s2, 0x29a3683c
	v_fmac_f32_e32 v9, 0xa6980722, v0
	v_mov_b32_e32 v8, 0x2821c54e
	s_mov_b32 s3, 0xab1ad20e
	v_pk_fma_f32 v[8:9], v[0:1], v[8:9], s[2:3] op_sel_hi:[0,1,1]
	s_mov_b32 s2, 0x2983c391
	s_mov_b32 s3, 0x2d30995e
	v_pk_fma_f32 v[8:9], v[0:1], v[8:9], s[2:3] op_sel_hi:[0,1,1]
	s_mov_b32 s2, 0xae3a38e8
	;; [unrolled: 3-line block ×9, first 2 shown]
	s_mov_b32 s3, 0x3d90094e
	v_pk_fma_f32 v[20:21], v[0:1], v[8:9], s[2:3] op_sel_hi:[0,1,1]
	v_mov_b32_e32 v1, 0xa44718f2
	v_fmac_f32_e32 v1, 0x22395373, v0
	s_mov_b32 s2, 0xa7e0e884
	v_fmaak_f32 v9, v0, v1, 0x263d02b4
	v_mov_b32_e32 v8, 0x25cf89a3
	s_mov_b32 s3, 0xa8371f1b
	v_pk_fma_f32 v[8:9], v[0:1], v[8:9], s[2:3] op_sel_hi:[0,1,1]
	s_mov_b32 s2, 0x29dff2d1
	s_mov_b32 s3, 0x2a27e7db
	v_pk_fma_f32 v[8:9], v[0:1], v[8:9], s[2:3] op_sel_hi:[0,1,1]
	s_mov_b32 s2, 0xabf62839
	;; [unrolled: 3-line block ×11, first 2 shown]
	s_mov_b32 s3, 0x3a293868
	v_pk_fma_f32 v[22:23], v[0:1], v[8:9], s[2:3] op_sel_hi:[0,1,1]
	v_mov_b32_e32 v1, 0x221f8da1
	v_fmac_f32_e32 v1, 0xa018590b, v0
	v_fmaak_f32 v1, v0, v1, 0xa40f5070
	v_fmaak_f32 v8, v0, v1, 0x2603be95
	v_mov_b32_e32 v9, 0x28ca1751
	s_mov_b32 s2, 0xa7e307af
	v_pk_fma_f32 v[12:13], v[0:1], v[8:9], s[2:3]
	s_mov_b32 s3, 0x295b6d37
	v_pk_fma_f32 v[8:9], v[0:1], v[8:9], s[2:3] op_sel_hi:[0,1,1] neg_lo:[1,0,0] neg_hi:[1,0,0]
	s_mov_b32 s2, 0x29b4d951
	v_mov_b32_e32 v13, v9
	s_mov_b32 s3, 0x2cc4968c
	v_pk_fma_f32 v[8:9], v[0:1], v[12:13], s[2:3] op_sel_hi:[0,1,1]
	s_mov_b32 s2, 0xab84f182
	s_mov_b32 s3, 0xac564a67
	v_pk_fma_f32 v[8:9], v[0:1], v[8:9], s[2:3] op_sel_hi:[0,1,1]
	s_mov_b32 s2, 0x2d3321b7
	;; [unrolled: 3-line block ×10, first 2 shown]
	s_mov_b32 s3, 0x4077e3dd
	v_pk_fma_f32 v[8:9], v[0:1], v[8:9], s[2:3] op_sel_hi:[0,1,1]
.LBB0_27:
	s_or_b64 exec, exec, s[0:1]
                                        ; implicit-def: $vgpr0
.LBB0_28:
	s_andn2_saveexec_b64 s[0:1], s[16:17]
	s_cbranch_execz .LBB0_30
; %bb.29:
	v_add_f32_e32 v0, 0xc0f00000, v0
	v_mov_b32_e32 v5, 0x28665c86
	s_mov_b32 s2, 0x284d0c9c
	v_mov_b32_e32 v6, 0x2a55a02a
	v_fmac_f32_e32 v5, 0xa7844894, v0
	v_mov_b32_e32 v4, 0x284d0c9c
	v_pk_fma_f32 v[6:7], v[0:1], s[2:3], v[6:7] neg_lo:[1,0,0] neg_hi:[1,0,0]
	s_mov_b32 s3, 0xabb6767e
	v_pk_fma_f32 v[4:5], v[0:1], v[4:5], s[2:3] op_sel_hi:[0,1,1]
	s_mov_b32 s2, 0xaca96f2d
	v_mov_b32_e32 v7, v5
	s_mov_b32 s3, 0x2d81ef09
	v_pk_fma_f32 v[4:5], v[0:1], v[6:7], s[2:3] op_sel_hi:[0,1,1]
	s_mov_b32 s2, 0x2f2c41b4
	s_mov_b32 s3, 0x30163233
	v_pk_fma_f32 v[4:5], v[0:1], v[4:5], s[2:3] op_sel_hi:[0,1,1]
	s_mov_b32 s2, 0xb1806e3b
	;; [unrolled: 3-line block ×7, first 2 shown]
	s_mov_b32 s3, 0x3dfb10ad
	v_pk_fma_f32 v[4:5], v[0:1], v[4:5], s[2:3] op_sel_hi:[0,1,1]
	v_mov_b32_e32 v7, 0x28b41034
	s_mov_b32 s2, 0xab44044a
	v_fmac_f32_e32 v7, 0xa8664056, v0
	v_mov_b32_e32 v6, 0x287a6e72
	s_mov_b32 s3, 0x2c8410e9
	v_pk_fma_f32 v[6:7], v[0:1], v[6:7], s[2:3] op_sel_hi:[0,1,1]
	s_mov_b32 s2, 0x2ba5a3f3
	s_mov_b32 s3, 0xadee3326
	v_pk_fma_f32 v[6:7], v[0:1], v[6:7], s[2:3] op_sel_hi:[0,1,1]
	s_mov_b32 s2, 0x2f3dbc17
	;; [unrolled: 3-line block ×9, first 2 shown]
	s_mov_b32 s3, 0x3fb32774
	v_pk_fma_f32 v[6:7], v[0:1], v[6:7], s[2:3] op_sel_hi:[0,1,1]
	v_mov_b32_e32 v1, 0xa8d3021f
	v_fmac_f32_e32 v1, 0x26b51f40, v0
	s_mov_b32 s2, 0xaa8bf20a
	v_fmaak_f32 v9, v0, v1, 0x2adfac9a
	v_mov_b32_e32 v8, 0x280f4f2a
	s_mov_b32 s3, 0xacf05408
	v_pk_fma_f32 v[8:9], v[0:1], v[8:9], s[2:3] op_sel_hi:[0,1,1]
	s_mov_b32 s2, 0x2ca7857e
	s_mov_b32 s3, 0x2efadbb3
	v_pk_fma_f32 v[8:9], v[0:1], v[8:9], s[2:3] op_sel_hi:[0,1,1]
	s_mov_b32 s2, 0xaed1b194
	;; [unrolled: 3-line block ×9, first 2 shown]
	s_mov_b32 s3, 0x3dc704bb
	v_pk_fma_f32 v[20:21], v[0:1], v[8:9], s[2:3] op_sel_hi:[0,1,1]
	v_mov_b32_e32 v1, 0x2555a2e1
	v_fmac_f32_e32 v1, 0xa348a2a3, v0
	s_mov_b32 s2, 0x266c9de8
	v_mov_b32_e32 v12, 0x2877704b
	v_fmaak_f32 v9, v0, v1, 0xa744bb38
	v_mov_b32_e32 v8, 0x266c9de8
	v_pk_fma_f32 v[12:13], v[0:1], s[2:3], v[12:13] neg_lo:[1,0,0] neg_hi:[1,0,0]
	s_mov_b32 s3, 0x2939e153
	v_pk_fma_f32 v[8:9], v[0:1], v[8:9], s[2:3] op_sel_hi:[0,1,1]
	s_mov_b32 s2, 0xaa63c10f
	v_mov_b32_e32 v13, v9
	s_mov_b32 s3, 0xab258bcd
	v_pk_fma_f32 v[8:9], v[0:1], v[12:13], s[2:3] op_sel_hi:[0,1,1]
	s_mov_b32 s2, 0x2c573107
	s_mov_b32 s3, 0x2d094fb3
	v_pk_fma_f32 v[8:9], v[0:1], v[8:9], s[2:3] op_sel_hi:[0,1,1]
	s_mov_b32 s2, 0xae40fb43
	;; [unrolled: 3-line block ×11, first 2 shown]
	s_mov_b32 s3, 0x3b28c4c7
	v_pk_fma_f32 v[22:23], v[0:1], v[8:9], s[2:3] op_sel_hi:[0,1,1]
	v_mov_b32_e32 v1, 0xa3696281
	v_fmac_f32_e32 v1, 0x21572974, v0
	v_fmaak_f32 v1, v0, v1, 0x25597533
	v_fmaak_f32 v1, v0, v1, 0xa74f4a45
	;; [unrolled: 1-line block ×4, first 2 shown]
	v_mov_b32_e32 v9, 0x2a067ae9
	s_mov_b32 s2, 0x2ce9f7c1
	v_pk_fma_f32 v[12:13], v[0:1], v[8:9], s[2:3]
	s_mov_b32 s3, 0xac24b72c
	v_pk_fma_f32 v[8:9], v[0:1], v[8:9], s[2:3] op_sel_hi:[0,1,1] neg_lo:[1,0,0] neg_hi:[1,0,0]
	s_mov_b32 s2, 0xaea3bb01
	v_mov_b32_e32 v13, v9
	s_mov_b32 s3, 0x2cf16c3f
	v_pk_fma_f32 v[8:9], v[0:1], v[12:13], s[2:3] op_sel_hi:[0,1,1]
	s_mov_b32 s2, 0x30503c11
	s_mov_b32 s3, 0x302732ff
	v_pk_fma_f32 v[8:9], v[0:1], v[8:9], s[2:3] op_sel_hi:[0,1,1]
	s_mov_b32 s2, 0xb1ee1910
	;; [unrolled: 3-line block ×9, first 2 shown]
	s_mov_b32 s3, 0x40fcc4bc
	v_pk_fma_f32 v[8:9], v[0:1], v[8:9], s[2:3] op_sel_hi:[0,1,1]
.LBB0_30:
	s_or_b64 exec, exec, s[0:1]
                                        ; implicit-def: $vgpr0
.LBB0_31:
	s_andn2_saveexec_b64 s[0:1], s[14:15]
	s_cbranch_execz .LBB0_33
; %bb.32:
	v_add_f32_e32 v0, 0xc0400000, v0
	v_mov_b32_e32 v5, 0x29754577
	s_mov_b32 s2, 0x28e8888b
	v_mov_b32_e32 v6, 0x2b652811
	v_fmac_f32_e32 v5, 0x283c4bc8, v0
	v_mov_b32_e32 v4, 0x28e8888b
	v_pk_fma_f32 v[6:7], v[0:1], s[2:3], v[6:7] neg_lo:[1,0,0] neg_hi:[1,0,0]
	s_mov_b32 s3, 0xaca9fa51
	v_pk_fma_f32 v[4:5], v[0:1], v[4:5], s[2:3] op_sel_hi:[0,1,1]
	s_mov_b32 s2, 0xadb9f664
	v_mov_b32_e32 v7, v5
	s_mov_b32 s3, 0x2ef9f35d
	v_pk_fma_f32 v[4:5], v[0:1], v[6:7], s[2:3] op_sel_hi:[0,1,1]
	s_mov_b32 s2, 0x300c2389
	s_mov_b32 s3, 0xb097c8ac
	v_pk_fma_f32 v[4:5], v[0:1], v[4:5], s[2:3] op_sel_hi:[0,1,1]
	s_mov_b32 s2, 0xb2474a47
	;; [unrolled: 3-line block ×7, first 2 shown]
	s_mov_b32 s3, 0x3e3447d5
	v_mov_b32_e32 v6, 0x2b26a6ba
	v_pk_fma_f32 v[4:5], v[0:1], v[4:5], s[2:3] op_sel_hi:[0,1,1]
	v_fmac_f32_e32 v6, 0xa99b4e1a, v0
	v_mov_b32_e32 v7, 0x2c7e3ce8
	s_mov_b32 s2, 0x2da27a98
	v_pk_fma_f32 v[8:9], v[0:1], v[6:7], s[2:3]
	s_mov_b32 s3, 0xadee3388
	v_pk_fma_f32 v[6:7], v[0:1], v[6:7], s[2:3] op_sel_hi:[0,1,1] neg_lo:[1,0,0] neg_hi:[1,0,0]
	s_mov_b32 s2, 0xafba689a
	v_mov_b32_e32 v9, v7
	s_mov_b32 s3, 0x3072ed00
	v_pk_fma_f32 v[6:7], v[0:1], v[8:9], s[2:3] op_sel_hi:[0,1,1]
	s_mov_b32 s2, 0xb14dd9f5
	s_mov_b32 s3, 0x3288b91d
	v_pk_fma_f32 v[6:7], v[0:1], v[6:7], s[2:3] op_sel_hi:[0,1,1]
	s_mov_b32 s2, 0x34291137
	;; [unrolled: 3-line block ×7, first 2 shown]
	s_mov_b32 s3, 0x400dbc23
	v_pk_fma_f32 v[6:7], v[0:1], v[6:7], s[2:3] op_sel_hi:[0,1,1]
	v_mov_b32_e32 v1, 0xab1394d7
	v_fmac_f32_e32 v1, 0x2911b091, v0
	s_mov_b32 s2, 0xac089e7f
	v_fmaak_f32 v9, v0, v1, 0x2d08385c
	v_mov_b32_e32 v8, 0x29eaf8e8
	s_mov_b32 s3, 0xaefc0358
	v_pk_fma_f32 v[8:9], v[0:1], v[8:9], s[2:3] op_sel_hi:[0,1,1]
	s_mov_b32 s2, 0x2e194b61
	s_mov_b32 s3, 0x30ddff27
	v_pk_fma_f32 v[8:9], v[0:1], v[8:9], s[2:3] op_sel_hi:[0,1,1]
	s_mov_b32 s2, 0xb02c8df6
	;; [unrolled: 3-line block ×9, first 2 shown]
	s_mov_b32 s3, 0x3e23ab95
	v_pk_fma_f32 v[20:21], v[0:1], v[8:9], s[2:3] op_sel_hi:[0,1,1]
	v_mov_b32_e32 v9, 0xaa350dc3
	s_mov_b32 s2, 0x291a6110
	v_mov_b32_e32 v12, 0x2b143093
	v_fmac_f32_e32 v9, 0x283b7ae5, v0
	v_mov_b32_e32 v8, 0x291a6110
	v_pk_fma_f32 v[12:13], v[0:1], s[2:3], v[12:13] neg_lo:[1,0,0] neg_hi:[1,0,0]
	s_mov_b32 s3, 0x2c19a711
	v_pk_fma_f32 v[8:9], v[0:1], v[8:9], s[2:3] op_sel_hi:[0,1,1]
	s_mov_b32 s2, 0xacfcc6b3
	v_mov_b32_e32 v13, v9
	s_mov_b32 s3, 0xae0146bc
	v_pk_fma_f32 v[8:9], v[0:1], v[12:13], s[2:3] op_sel_hi:[0,1,1]
	s_mov_b32 s2, 0x2ed6b60e
	s_mov_b32 s3, 0x2fca44e6
	v_pk_fma_f32 v[8:9], v[0:1], v[8:9], s[2:3] op_sel_hi:[0,1,1]
	s_mov_b32 s2, 0xb0aaf9df
	s_mov_b32 s3, 0xb1919bb4
	v_pk_fma_f32 v[8:9], v[0:1], v[8:9], s[2:3] op_sel_hi:[0,1,1]
	s_mov_b32 s2, 0x327d03f8
	s_mov_b32 s3, 0x333fcbb5
	v_pk_fma_f32 v[8:9], v[0:1], v[8:9], s[2:3] op_sel_hi:[0,1,1]
	s_mov_b32 s2, 0xb42d0f72
	s_mov_b32 s3, 0xb4e4f82e
	v_pk_fma_f32 v[8:9], v[0:1], v[8:9], s[2:3] op_sel_hi:[0,1,1]
	s_mov_b32 s2, 0x35d8f61a
	s_mov_b32 s3, 0x3674c2a6
	v_pk_fma_f32 v[8:9], v[0:1], v[8:9], s[2:3] op_sel_hi:[0,1,1]
	s_mov_b32 s2, 0xb776609c
	s_mov_b32 s3, 0xb7e69389
	v_pk_fma_f32 v[8:9], v[0:1], v[8:9], s[2:3] op_sel_hi:[0,1,1]
	s_mov_b32 s2, 0x38f95a24
	s_mov_b32 s3, 0x393b42d9
	v_pk_fma_f32 v[8:9], v[0:1], v[8:9], s[2:3] op_sel_hi:[0,1,1]
	s_mov_b32 s2, 0xba5b8fdc
	s_mov_b32 s3, 0xba7dde2b
	v_pk_fma_f32 v[8:9], v[0:1], v[8:9], s[2:3] op_sel_hi:[0,1,1]
	s_mov_b32 s2, 0x3ba1cafa
	s_mov_b32 s3, 0x3b8850ce
	v_pk_fma_f32 v[8:9], v[0:1], v[8:9], s[2:3] op_sel_hi:[0,1,1]
	s_mov_b32 s2, 0xbcb8bdde
	s_mov_b32 s3, 0xbc5230cf
	v_pk_fma_f32 v[8:9], v[0:1], v[8:9], s[2:3] op_sel_hi:[0,1,1]
	s_mov_b32 s2, 0x3d8e611f
	s_mov_b32 s3, 0x3cb626f5
	v_pk_fma_f32 v[22:23], v[0:1], v[8:9], s[2:3] op_sel_hi:[0,1,1]
	v_mov_b32_e32 v1, 0x286caab9
	v_fmac_f32_e32 v1, 0xa66b6b05, v0
	v_fmaak_f32 v1, v0, v1, 0xaa5112f7
	v_fmaak_f32 v1, v0, v1, 0x2c36bc73
	;; [unrolled: 1-line block ×3, first 2 shown]
	s_mov_b32 s2, 0xb196d20a
	v_fmaak_f32 v8, v0, v1, 0x2fdd4c13
	v_mov_b32_e32 v9, 0x2b4880f0
	s_mov_b32 s3, 0x2c5ec5b6
	v_pk_fma_f32 v[8:9], v[0:1], v[8:9], s[2:3] op_sel_hi:[0,1,1]
	s_mov_b32 s2, 0x333a1722
	s_mov_b32 s3, 0xaec10040
	v_pk_fma_f32 v[8:9], v[0:1], v[8:9], s[2:3] op_sel_hi:[0,1,1]
	s_mov_b32 s2, 0xb4cd7237
	;; [unrolled: 3-line block ×9, first 2 shown]
	s_mov_b32 s3, 0x415920af
	v_pk_fma_f32 v[8:9], v[0:1], v[8:9], s[2:3] op_sel_hi:[0,1,1]
.LBB0_33:
	s_or_b64 exec, exec, s[0:1]
                                        ; implicit-def: $vgpr0
.LBB0_34:
	s_andn2_saveexec_b64 s[0:1], s[12:13]
	s_cbranch_execz .LBB0_36
; %bb.35:
	s_mov_b32 s2, 0x2e44739a
	s_mov_b32 s3, 0x2f5455b2
	v_mov_b32_e32 v4, 0x30a78266
	v_pk_fma_f32 v[4:5], v[0:1], s[2:3], v[4:5] neg_lo:[1,0,0] neg_hi:[1,0,0]
	v_mov_b32_e32 v1, 0xb19d1daf
	v_pk_fma_f32 v[6:7], v[0:1], s[2:3], v[0:1] op_sel_hi:[0,1,1]
	s_mov_b32 s2, 0xb2e1e4d2
	v_mov_b32_e32 v5, v7
	s_mov_b32 s3, 0x32d55286
	v_pk_fma_f32 v[4:5], v[0:1], v[4:5], s[2:3] op_sel_hi:[0,1,1]
	s_mov_b32 s2, 0x350a45d4
	s_mov_b32 s3, 0x35ca49e0
	v_pk_fma_f32 v[4:5], v[0:1], v[4:5], s[2:3] op_sel_hi:[0,1,1]
	s_mov_b32 s2, 0xb71bae72
	;; [unrolled: 3-line block ×5, first 2 shown]
	s_mov_b32 s3, 0x3e6cd27d
	v_mov_b32_e32 v6, 0x340d3d23
	v_pk_fma_f32 v[4:5], v[0:1], v[4:5], s[2:3] op_sel_hi:[0,1,1]
	v_fmac_f32_e32 v6, 0x31a6a427, v0
	v_mov_b32_e32 v7, 0x348574d2
	s_mov_b32 s2, 0xb639ac78
	v_pk_fma_f32 v[8:9], v[0:1], v[6:7], s[2:3]
	s_mov_b32 s3, 0xb691c9c6
	v_pk_fma_f32 v[6:7], v[0:1], v[6:7], s[2:3] op_sel_hi:[0,1,1] neg_lo:[1,0,0] neg_hi:[1,0,0]
	s_mov_b32 s2, 0xb8a074df
	v_mov_b32_e32 v9, v7
	s_mov_b32 s3, 0xb54841fc
	v_pk_fma_f32 v[6:7], v[0:1], v[8:9], s[2:3] op_sel_hi:[0,1,1]
	s_mov_b32 s2, 0x3b8427bf
	s_mov_b32 s3, 0x3c25d2e0
	v_pk_fma_f32 v[6:7], v[0:1], v[6:7], s[2:3] op_sel_hi:[0,1,1]
	s_mov_b32 s2, 0xbda7392a
	;; [unrolled: 3-line block ×3, first 2 shown]
	s_mov_b32 s3, 0x403e4e52
	v_pk_fma_f32 v[6:7], v[0:1], v[6:7], s[2:3] op_sel_hi:[0,1,1]
	v_mov_b32_e32 v9, 0xb415394f
	s_mov_b32 s2, 0x310c10db
	v_mov_b32_e32 v12, 0x33271f1f
	v_fmac_f32_e32 v9, 0x32143c76, v0
	v_mov_b32_e32 v8, 0x310c10db
	v_pk_fma_f32 v[12:13], v[0:1], s[2:3], v[12:13] neg_lo:[1,0,0] neg_hi:[1,0,0]
	s_mov_b32 s3, 0x35d72305
	v_pk_fma_f32 v[8:9], v[0:1], v[8:9], s[2:3] op_sel_hi:[0,1,1]
	s_mov_b32 s2, 0xb51d030a
	v_mov_b32_e32 v13, v9
	s_mov_b32 s3, 0xb78a1b67
	v_pk_fma_f32 v[8:9], v[0:1], v[12:13], s[2:3] op_sel_hi:[0,1,1]
	s_mov_b32 s2, 0x370b4dcf
	s_mov_b32 s3, 0x39215157
	v_pk_fma_f32 v[8:9], v[0:1], v[8:9], s[2:3] op_sel_hi:[0,1,1]
	s_mov_b32 s2, 0xb8ed6fab
	;; [unrolled: 3-line block ×6, first 2 shown]
	s_mov_b32 s3, 0xb32556fa
	v_mov_b32_e32 v8, 0x341e535e
	v_mov_b32_e32 v9, 0x35181824
	v_pk_fma_f32 v[8:9], v[0:1], s[2:3], v[8:9] op_sel_hi:[0,1,1]
	s_mov_b32 s2, 0xb5d355cf
	s_mov_b32 s3, 0xb6b956a9
	v_pk_fma_f32 v[8:9], v[0:1], v[8:9], s[2:3] op_sel_hi:[0,1,1]
	s_mov_b32 s2, 0x37736f4a
	s_mov_b32 s3, 0x383e11ba
	v_pk_fma_f32 v[8:9], v[0:1], v[8:9], s[2:3] op_sel_hi:[0,1,1]
	s_mov_b32 s2, 0xb8f943da
	s_mov_b32 s3, 0xb9a91af6
	v_pk_fma_f32 v[8:9], v[0:1], v[8:9], s[2:3] op_sel_hi:[0,1,1]
	s_mov_b32 s2, 0x3a5fcaae
	s_mov_b32 s3, 0x3b003dff
	v_pk_fma_f32 v[8:9], v[0:1], v[8:9], s[2:3] op_sel_hi:[0,1,1]
	s_mov_b32 s2, 0xbbab562b
	s_mov_b32 s3, 0xbc201c1a
	v_pk_fma_f32 v[8:9], v[0:1], v[8:9], s[2:3] op_sel_hi:[0,1,1]
	s_mov_b32 s2, 0x3cd5b129
	s_mov_b32 s3, 0x3d1b6cd7
	v_pk_fma_f32 v[8:9], v[0:1], v[8:9], s[2:3] op_sel_hi:[0,1,1]
	s_mov_b32 s2, 0xbdc6e45f
	s_mov_b32 s3, 0xbdd2e6cb
	v_pk_fma_f32 v[8:9], v[0:1], v[8:9], s[2:3] op_sel_hi:[0,1,1]
	s_mov_b32 s2, 0x3e60582d
	s_mov_b32 s3, 0x3e1909c6
	v_pk_fma_f32 v[22:23], v[0:1], v[8:9], s[2:3] op_sel_hi:[0,1,1]
	v_mov_b32_e32 v1, 0xb38af695
	v_fmac_f32_e32 v1, 0x318cbc57, v0
	v_fmaak_f32 v1, v0, v1, 0x35350544
	v_fmaak_f32 v1, v0, v1, 0xb6c6932e
	;; [unrolled: 1-line block ×3, first 2 shown]
	v_mov_b32_e32 v9, 0x32195195
	s_mov_b32 s2, 0xb99cd0e8
	v_pk_fma_f32 v[12:13], v[0:1], v[8:9], s[2:3]
	s_mov_b32 s3, 0x32984a3e
	v_pk_fma_f32 v[8:9], v[0:1], v[8:9], s[2:3] op_sel_hi:[0,1,1] neg_lo:[1,0,0] neg_hi:[1,0,0]
	s_mov_b32 s2, 0x3ad92e46
	v_mov_b32_e32 v13, v9
	s_mov_b32 s3, 0x364c0fc5
	v_pk_fma_f32 v[8:9], v[0:1], v[12:13], s[2:3] op_sel_hi:[0,1,1]
	s_mov_b32 s2, 0xbbf2b401
	s_mov_b32 s3, 0x38dded41
	v_pk_fma_f32 v[8:9], v[0:1], v[8:9], s[2:3] op_sel_hi:[0,1,1]
	s_mov_b32 s2, 0x3ccd876f
	;; [unrolled: 3-line block ×4, first 2 shown]
	s_mov_b32 s3, 0x4193524d
	v_pk_fma_f32 v[8:9], v[0:1], v[8:9], s[2:3] op_sel_hi:[0,1,1]
.LBB0_36:
	s_or_b64 exec, exec, s[0:1]
                                        ; implicit-def: $vgpr0
.LBB0_37:
	s_andn2_saveexec_b64 s[0:1], s[10:11]
	s_cbranch_execz .LBB0_39
; %bb.38:
	s_mov_b32 s2, 0xbb0d784d
	s_mov_b32 s3, 0xbcb46f9c
	v_mov_b32_e32 v4, 0x3cb9ade5
	v_mov_b32_e32 v5, 0x3e6cd27d
	s_mov_b32 s10, 0xbca14620
	v_pk_fma_f32 v[4:5], v[0:1], s[2:3], v[4:5] op_sel_hi:[0,1,1]
	s_mov_b32 s2, 0xbda7392a
	s_mov_b32 s11, 0xbd661675
	v_mov_b32_e32 v8, 0x3e974ef4
	v_mov_b32_e32 v9, 0x3e89dd54
	s_mov_b32 s3, 0xbe90feb9
	v_mov_b32_e32 v6, 0x3f5b7b07
	v_mov_b32_e32 v7, 0x403e4e52
	v_pk_fma_f32 v[20:21], v[0:1], s[10:11], v[8:9] op_sel_hi:[0,1,1]
	s_mov_b32 s10, 0xbdc6e45f
	v_pk_fma_f32 v[6:7], v[0:1], s[2:3], v[6:7] op_sel_hi:[0,1,1]
	s_mov_b32 s2, 0xbd6b057d
	s_mov_b32 s11, 0xbdd2e6cb
	v_mov_b32_e32 v8, 0x3e60582d
	v_mov_b32_e32 v9, 0x3e1909c6
	s_mov_b32 s3, 0xbfe07d69
	v_pk_fma_f32 v[22:23], v[0:1], s[10:11], v[8:9] op_sel_hi:[0,1,1]
	v_mov_b32_e32 v8, 0x3d888afc
	v_mov_b32_e32 v9, 0x4193524d
	v_pk_fma_f32 v[8:9], v[0:1], s[2:3], v[8:9] op_sel_hi:[0,1,1]
.LBB0_39:
	s_or_b64 exec, exec, s[0:1]
	scratch_store_dwordx4 off, v[4:7], s32 offset:112
	scratch_store_dwordx4 off, v[20:23], s32 offset:144
	scratch_store_dword off, v9, s32 offset:128
	scratch_store_dword off, v8, s32 offset:160
.LBB0_40:
	s_or_b64 exec, exec, s[8:9]
                                        ; implicit-def: $vgpr0
.LBB0_41:
	s_andn2_saveexec_b64 s[6:7], s[6:7]
	s_cbranch_execz .LBB0_81
; %bb.42:
	v_cmp_eq_u32_e32 vcc, 3, v32
	s_and_saveexec_b64 s[8:9], vcc
	s_cbranch_execz .LBB0_80
; %bb.43:
	s_mov_b32 s0, 0x34a10fb0
	v_cmp_ge_f32_e32 vcc, s0, v0
                                        ; implicit-def: $vgpr21
                                        ; implicit-def: $vgpr6_vgpr7
	s_and_saveexec_b64 s[0:1], vcc
	s_xor_b64 s[0:1], exec, s[0:1]
	s_cbranch_execz .LBB0_45
; %bb.44:
	s_mov_b32 s2, 0xbb863b96
	s_mov_b32 s3, 0xbd37ded9
	v_mov_b32_e32 v4, 0x3d0e9f4f
	v_mov_b32_e32 v5, 0x3ec35cc6
	v_pk_fma_f32 v[4:5], v[0:1], s[2:3], v[4:5] op_sel_hi:[0,1,1]
	s_mov_b32 s2, 0xbe514b60
	s_mov_b32 s3, 0xbfb26435
	v_mov_b32_e32 v6, 0x3fde6016
	v_mov_b32_e32 v7, 0x413d8a78
	v_pk_fma_f32 v[6:7], v[0:1], s[2:3], v[6:7] op_sel_hi:[0,1,1]
	;; [unrolled: 5-line block ×4, first 2 shown]
                                        ; implicit-def: $vgpr0
.LBB0_45:
	s_andn2_saveexec_b64 s[10:11], s[0:1]
	s_cbranch_execz .LBB0_79
; %bb.46:
	v_cmp_ge_f32_e32 vcc, 1.0, v0
                                        ; implicit-def: $vgpr21
                                        ; implicit-def: $vgpr6_vgpr7
	s_and_saveexec_b64 s[0:1], vcc
	s_xor_b64 s[0:1], exec, s[0:1]
	s_cbranch_execz .LBB0_48
; %bb.47:
	v_mov_b32_e32 v4, 0x31b29714
	v_fmac_f32_e32 v4, 0xaf56bec5, v0
	v_mov_b32_e32 v5, 0x32a2d38f
	s_mov_b32 s2, 0xb3da8534
	v_pk_fma_f32 v[6:7], v[0:1], v[4:5], s[2:3]
	s_mov_b32 s3, 0x34a521e7
	v_pk_fma_f32 v[4:5], v[0:1], v[4:5], s[2:3] op_sel_hi:[0,1,1] neg_lo:[1,0,0] neg_hi:[1,0,0]
	s_mov_b32 s2, 0x35e7587c
	v_mov_b32_e32 v7, v5
	s_mov_b32 s3, 0x35aa969a
	v_pk_fma_f32 v[4:5], v[0:1], v[6:7], s[2:3] op_sel_hi:[0,1,1]
	s_mov_b32 s2, 0xb7db1d08
	s_mov_b32 s3, 0xb9149d52
	v_pk_fma_f32 v[4:5], v[0:1], v[4:5], s[2:3] op_sel_hi:[0,1,1]
	s_mov_b32 s2, 0x39b9084c
	;; [unrolled: 3-line block ×4, first 2 shown]
	s_mov_b32 s3, 0x3ec35cc6
	v_mov_b32_e32 v6, 0x3310894f
	v_pk_fma_f32 v[4:5], v[0:1], v[4:5], s[2:3] op_sel_hi:[0,1,1]
	v_fmac_f32_e32 v6, 0x30f3a70b, v0
	v_mov_b32_e32 v7, 0x3371075f
	s_mov_b32 s2, 0xb48ab230
	v_pk_fma_f32 v[8:9], v[0:1], v[6:7], s[2:3]
	s_mov_b32 s3, 0xb485f05f
	v_pk_fma_f32 v[6:7], v[0:1], v[6:7], s[2:3] op_sel_hi:[0,1,1] neg_lo:[1,0,0] neg_hi:[1,0,0]
	s_mov_b32 s2, 0xb73eaa1c
	v_mov_b32_e32 v9, v7
	s_mov_b32 s3, 0x3666185c
	v_pk_fma_f32 v[6:7], v[0:1], v[8:9], s[2:3] op_sel_hi:[0,1,1]
	s_mov_b32 s2, 0xb8a5ffff
	s_mov_b32 s3, 0x39300e83
	v_pk_fma_f32 v[6:7], v[0:1], v[6:7], s[2:3] op_sel_hi:[0,1,1]
	s_mov_b32 s2, 0x3c2a1bb5
	s_mov_b32 s3, 0x3d4172bb
	v_pk_fma_f32 v[6:7], v[0:1], v[6:7], s[2:3] op_sel_hi:[0,1,1]
	s_mov_b32 s2, 0xbe514b60
	s_mov_b32 s3, 0xbfb26435
	v_pk_fma_f32 v[6:7], v[0:1], v[6:7], s[2:3] op_sel_hi:[0,1,1]
	s_mov_b32 s2, 0x3fde6016
	s_mov_b32 s3, 0x413d8a78
	v_pk_fma_f32 v[6:7], v[0:1], v[6:7], s[2:3] op_sel_hi:[0,1,1]
	v_mov_b32_e32 v1, 0x338ca700
	v_fmac_f32_e32 v1, 0xb18d7751, v0
	s_mov_b32 s2, 0x3244f74c
	v_mov_b32_e32 v12, 0x3449e154
	v_fmaak_f32 v9, v0, v1, 0xb5414923
	v_mov_b32_e32 v8, 0x3244f74c
	v_pk_fma_f32 v[12:13], v[0:1], s[2:3], v[12:13] neg_lo:[1,0,0] neg_hi:[1,0,0]
	s_mov_b32 s3, 0x36e8cb38
	v_pk_fma_f32 v[8:9], v[0:1], v[8:9], s[2:3] op_sel_hi:[0,1,1]
	s_mov_b32 s2, 0xb61c91a5
	v_mov_b32_e32 v13, v9
	s_mov_b32 s3, 0xb87de8d9
	v_pk_fma_f32 v[8:9], v[0:1], v[12:13], s[2:3] op_sel_hi:[0,1,1]
	s_mov_b32 s2, 0x37e18d8d
	s_mov_b32 s3, 0x39f8a3a0
	v_pk_fma_f32 v[8:9], v[0:1], v[8:9], s[2:3] op_sel_hi:[0,1,1]
	s_mov_b32 s2, 0xb99a480a
	;; [unrolled: 3-line block ×5, first 2 shown]
	s_mov_b32 s3, 0x3ea09e28
	v_pk_fma_f32 v[20:21], v[0:1], v[8:9], s[2:3] op_sel_hi:[0,1,1]
	v_mov_b32_e32 v9, 0xb3aaa2d3
	s_mov_b32 s2, 0x3312c10a
	v_mov_b32_e32 v12, 0x35082932
	v_fmac_f32_e32 v9, 0x31abae9b, v0
	v_mov_b32_e32 v8, 0x3312c10a
	v_pk_fma_f32 v[12:13], v[0:1], s[2:3], v[12:13] neg_lo:[1,0,0] neg_hi:[1,0,0]
	s_mov_b32 s3, 0x3560631c
	v_pk_fma_f32 v[8:9], v[0:1], v[8:9], s[2:3] op_sel_hi:[0,1,1]
	s_mov_b32 s2, 0xb6a8559c
	v_mov_b32_e32 v13, v9
	s_mov_b32 s3, 0xb6f90dab
	v_pk_fma_f32 v[8:9], v[0:1], v[12:13], s[2:3] op_sel_hi:[0,1,1]
	s_mov_b32 s2, 0x3830502e
	s_mov_b32 s3, 0x3871bbc3
	v_pk_fma_f32 v[8:9], v[0:1], v[8:9], s[2:3] op_sel_hi:[0,1,1]
	s_mov_b32 s2, 0xb9a18075
	;; [unrolled: 3-line block ×7, first 2 shown]
	s_mov_b32 s3, 0x3dcf50e8
	v_pk_fma_f32 v[22:23], v[0:1], v[8:9], s[2:3] op_sel_hi:[0,1,1]
                                        ; implicit-def: $vgpr0
.LBB0_48:
	s_andn2_saveexec_b64 s[12:13], s[0:1]
	s_cbranch_execz .LBB0_78
; %bb.49:
	s_mov_b32 s0, 0x40a00000
	v_cmp_ge_f32_e32 vcc, s0, v0
                                        ; implicit-def: $vgpr21
                                        ; implicit-def: $vgpr6_vgpr7
	s_and_saveexec_b64 s[0:1], vcc
	s_xor_b64 s[0:1], exec, s[0:1]
	s_cbranch_execz .LBB0_51
; %bb.50:
	s_mov_b32 s2, 0x26d61ce4
	v_add_f32_e32 v0, 0xc0400000, v0
	s_mov_b32 s3, 0x2a18ee80
	v_mov_b32_e32 v4, 0xaa160d59
	v_pk_fma_f32 v[4:5], v[0:1], s[2:3], v[4:5] neg_lo:[1,0,0] neg_hi:[1,0,0]
	v_mov_b32_e32 v1, 0xac21b027
	v_pk_fma_f32 v[6:7], v[0:1], s[2:3], v[0:1] op_sel_hi:[0,1,1]
	s_mov_b32 s2, 0x2c8f262f
	v_mov_b32_e32 v5, v7
	s_mov_b32 s3, 0xac867503
	v_pk_fma_f32 v[4:5], v[0:1], v[4:5], s[2:3] op_sel_hi:[0,1,1]
	s_mov_b32 s2, 0xaec98007
	s_mov_b32 s3, 0x303c235b
	v_pk_fma_f32 v[4:5], v[0:1], v[4:5], s[2:3] op_sel_hi:[0,1,1]
	s_mov_b32 s2, 0x310ca805
	;; [unrolled: 3-line block ×9, first 2 shown]
	s_mov_b32 s3, 0x2b98b6fb
	v_mov_b32_e32 v6, 0x2d3d0c80
	v_pk_fma_f32 v[6:7], v[0:1], s[2:3], v[6:7]
	v_mov_b32_e32 v1, 0x2e8d10d0
	v_pk_fma_f32 v[8:9], v[0:1], s[2:3], v[0:1] op_sel_hi:[0,1,1] neg_lo:[1,0,0] neg_hi:[1,0,0]
	s_mov_b32 s2, 0xaf22fa6a
	v_mov_b32_e32 v7, v9
	s_mov_b32 s3, 0x304f52d5
	v_pk_fma_f32 v[6:7], v[0:1], v[6:7], s[2:3] op_sel_hi:[0,1,1]
	s_mov_b32 s2, 0xb113fe48
	s_mov_b32 s3, 0xb118157a
	v_pk_fma_f32 v[6:7], v[0:1], v[6:7], s[2:3] op_sel_hi:[0,1,1]
	s_mov_b32 s2, 0x331cf11f
	s_mov_b32 s3, 0xb41b809d
	v_pk_fma_f32 v[6:7], v[0:1], v[6:7], s[2:3] op_sel_hi:[0,1,1]
	s_mov_b32 s2, 0x350a7e69
	s_mov_b32 s3, 0xb6034ffe
	v_pk_fma_f32 v[6:7], v[0:1], v[6:7], s[2:3] op_sel_hi:[0,1,1]
	s_mov_b32 s2, 0xb71fc8c5
	s_mov_b32 s3, 0xb73452e0
	v_pk_fma_f32 v[6:7], v[0:1], v[6:7], s[2:3] op_sel_hi:[0,1,1]
	s_mov_b32 s2, 0xb963125a
	s_mov_b32 s3, 0x391c9710
	v_pk_fma_f32 v[6:7], v[0:1], v[6:7], s[2:3] op_sel_hi:[0,1,1]
	s_mov_b32 s2, 0x3c1409b2
	s_mov_b32 s3, 0x3d47cca6
	v_pk_fma_f32 v[6:7], v[0:1], v[6:7], s[2:3] op_sel_hi:[0,1,1]
	s_mov_b32 s2, 0xbe14ff63
	s_mov_b32 s3, 0xbf8d8445
	v_pk_fma_f32 v[6:7], v[0:1], v[6:7], s[2:3] op_sel_hi:[0,1,1]
	s_mov_b32 s2, 0x3f9b7470
	s_mov_b32 s3, 0x41018534
	v_pk_fma_f32 v[6:7], v[0:1], v[6:7], s[2:3] op_sel_hi:[0,1,1]
	v_mov_b32_e32 v1, 0x2a7e0d84
	v_fmac_f32_e32 v1, 0xa883d0e0, v0
	s_mov_b32 s2, 0x2951c74e
	v_mov_b32_e32 v12, 0x2b558be6
	v_fmaak_f32 v9, v0, v1, 0xac5b4987
	v_mov_b32_e32 v8, 0x2951c74e
	v_pk_fma_f32 v[12:13], v[0:1], s[2:3], v[12:13] neg_lo:[1,0,0] neg_hi:[1,0,0]
	s_mov_b32 s3, 0x2e3e145e
	v_pk_fma_f32 v[8:9], v[0:1], v[8:9], s[2:3] op_sel_hi:[0,1,1]
	s_mov_b32 s2, 0xad50b625
	v_mov_b32_e32 v13, v9
	s_mov_b32 s3, 0xb01bf217
	v_pk_fma_f32 v[8:9], v[0:1], v[12:13], s[2:3] op_sel_hi:[0,1,1]
	s_mov_b32 s2, 0x2f4cc410
	s_mov_b32 s3, 0x31f0bc08
	v_pk_fma_f32 v[8:9], v[0:1], v[8:9], s[2:3] op_sel_hi:[0,1,1]
	s_mov_b32 s2, 0xb1405f8e
	;; [unrolled: 3-line block ×9, first 2 shown]
	s_mov_b32 s3, 0x3e1fff47
	v_pk_fma_f32 v[20:21], v[0:1], v[8:9], s[2:3] op_sel_hi:[0,1,1]
	v_mov_b32_e32 v9, 0x288e2f5e
	s_mov_b32 s2, 0xaa1e3c47
	v_fmac_f32_e32 v9, 0xa68c7d15, v0
	v_mov_b32_e32 v8, 0x28235b54
	s_mov_b32 s3, 0xaa7d53a8
	v_pk_fma_f32 v[8:9], v[0:1], v[8:9], s[2:3] op_sel_hi:[0,1,1]
	s_mov_b32 s2, 0x2c070e7f
	s_mov_b32 s3, 0x2c5f4f4a
	v_pk_fma_f32 v[8:9], v[0:1], v[8:9], s[2:3] op_sel_hi:[0,1,1]
	s_mov_b32 s2, 0xade52671
	;; [unrolled: 3-line block ×13, first 2 shown]
	s_mov_b32 s3, 0x3c1e4838
	v_pk_fma_f32 v[22:23], v[0:1], v[8:9], s[2:3] op_sel_hi:[0,1,1]
                                        ; implicit-def: $vgpr0
.LBB0_51:
	s_andn2_saveexec_b64 s[14:15], s[0:1]
	s_cbranch_execz .LBB0_77
; %bb.52:
	s_mov_b32 s0, 0x41200000
	v_cmp_ge_f32_e32 vcc, s0, v0
                                        ; implicit-def: $vgpr21
                                        ; implicit-def: $vgpr6_vgpr7
	s_and_saveexec_b64 s[0:1], vcc
	s_xor_b64 s[0:1], exec, s[0:1]
	s_cbranch_execz .LBB0_54
; %bb.53:
	s_mov_b32 s2, 0x27a7407e
	v_add_f32_e32 v0, 0xc0f00000, v0
	s_mov_b32 s3, 0x290465b7
	v_mov_b32_e32 v4, 0xa7e238da
	v_mov_b32_e32 v5, 0x2b6e9696
	v_pk_fma_f32 v[4:5], v[0:1], s[2:3], v[4:5] op_sel_hi:[0,1,1]
	s_mov_b32 s2, 0x2ac2e816
	s_mov_b32 s3, 0xad7e7037
	v_pk_fma_f32 v[4:5], v[0:1], v[4:5], s[2:3] op_sel_hi:[0,1,1]
	s_mov_b32 s2, 0xae00bdac
	s_mov_b32 s3, 0xacd85aab
	;; [unrolled: 3-line block ×9, first 2 shown]
	v_pk_fma_f32 v[4:5], v[0:1], v[4:5], s[2:3] op_sel_hi:[0,1,1]
	v_mov_b32_e32 v7, 0x2b58703b
	s_mov_b32 s2, 0xa9901fe5
	v_fmac_f32_e32 v7, 0xa8921ba1, v0
	v_mov_b32_e32 v6, 0x290430f6
	s_mov_b32 s3, 0x2ccacda3
	v_pk_fma_f32 v[6:7], v[0:1], v[6:7], s[2:3] op_sel_hi:[0,1,1]
	s_mov_b32 s2, 0xac3db225
	s_mov_b32 s3, 0xaf17cd6e
	v_pk_fma_f32 v[6:7], v[0:1], v[6:7], s[2:3] op_sel_hi:[0,1,1]
	s_mov_b32 s2, 0x2ee1dba1
	;; [unrolled: 3-line block ×10, first 2 shown]
	s_mov_b32 s3, 0x4083961f
	v_pk_fma_f32 v[6:7], v[0:1], v[6:7], s[2:3] op_sel_hi:[0,1,1]
	v_mov_b32_e32 v1, 0x27e16f6a
	v_fmac_f32_e32 v1, 0xa5cdf0a4, v0
	s_mov_b32 s2, 0x26ef395d
	v_mov_b32_e32 v12, 0x299bc9cd
	v_fmaak_f32 v9, v0, v1, 0xa9d97501
	v_mov_b32_e32 v8, 0x26ef395d
	v_pk_fma_f32 v[12:13], v[0:1], s[2:3], v[12:13] neg_lo:[1,0,0] neg_hi:[1,0,0]
	s_mov_b32 s3, 0x2bd4368f
	v_pk_fma_f32 v[8:9], v[0:1], v[8:9], s[2:3] op_sel_hi:[0,1,1]
	s_mov_b32 s2, 0xab8082b3
	v_mov_b32_e32 v13, v9
	s_mov_b32 s3, 0xadcd2bbb
	v_pk_fma_f32 v[8:9], v[0:1], v[12:13], s[2:3] op_sel_hi:[0,1,1]
	s_mov_b32 s2, 0x2d76e0e6
	s_mov_b32 s3, 0x2fbc7c7d
	v_pk_fma_f32 v[8:9], v[0:1], v[8:9], s[2:3] op_sel_hi:[0,1,1]
	s_mov_b32 s2, 0xafc9e21d
	;; [unrolled: 3-line block ×9, first 2 shown]
	s_mov_b32 s3, 0x3dae1fef
	v_pk_fma_f32 v[20:21], v[0:1], v[8:9], s[2:3] op_sel_hi:[0,1,1]
	v_mov_b32_e32 v9, 0x25944318
	s_mov_b32 s2, 0xa7417bc5
	v_fmac_f32_e32 v9, 0xa38f9ef6, v0
	v_mov_b32_e32 v8, 0x253def64
	s_mov_b32 s3, 0xa782a98b
	v_pk_fma_f32 v[8:9], v[0:1], v[8:9], s[2:3] op_sel_hi:[0,1,1]
	s_mov_b32 s2, 0x292aa2ef
	s_mov_b32 s3, 0x296bc062
	v_pk_fma_f32 v[8:9], v[0:1], v[8:9], s[2:3] op_sel_hi:[0,1,1]
	s_mov_b32 s2, 0xab1b0ff1
	;; [unrolled: 3-line block ×13, first 2 shown]
	s_mov_b32 s3, 0x3a0a07c1
	v_pk_fma_f32 v[22:23], v[0:1], v[8:9], s[2:3] op_sel_hi:[0,1,1]
                                        ; implicit-def: $vgpr0
.LBB0_54:
	s_andn2_saveexec_b64 s[16:17], s[0:1]
	s_cbranch_execz .LBB0_76
; %bb.55:
	s_mov_b32 s0, 0x41700000
	v_cmp_ge_f32_e32 vcc, s0, v0
                                        ; implicit-def: $vgpr21
                                        ; implicit-def: $vgpr6_vgpr7
	s_and_saveexec_b64 s[0:1], vcc
	s_xor_b64 s[2:3], exec, s[0:1]
	s_cbranch_execz .LBB0_57
; %bb.56:
	s_mov_b32 s0, 0x246437e5
	v_add_f32_e32 v8, 0xc1480000, v0
	s_mov_b32 s1, 0x260d0261
	v_mov_b32_e32 v4, 0x26679cea
	v_mov_b32_e32 v5, 0x283fa7d8
	v_pk_fma_f32 v[4:5], v[8:9], s[0:1], v[4:5] op_sel_hi:[0,1,1]
	s_mov_b32 s0, 0xa7c9bad2
	s_mov_b32 s1, 0xa975471b
	v_pk_fma_f32 v[4:5], v[8:9], v[4:5], s[0:1] op_sel_hi:[0,1,1]
	s_mov_b32 s0, 0xaa1b39e8
	s_mov_b32 s1, 0xabe31927
	;; [unrolled: 3-line block ×11, first 2 shown]
	v_pk_fma_f32 v[4:5], v[8:9], v[4:5], s[0:1] op_sel_hi:[0,1,1]
	v_mov_b32_e32 v7, 0xa954e934
	s_mov_b32 s0, 0x29fcf12e
	v_fmac_f32_e32 v7, 0x2950b415, v8
	v_mov_b32_e32 v6, 0x2989e793
	s_mov_b32 s1, 0xad3042c6
	v_pk_fma_f32 v[6:7], v[8:9], v[6:7], s[0:1] op_sel_hi:[0,1,1]
	s_mov_b32 s0, 0xad1f3a81
	s_mov_b32 s1, 0x2e859230
	v_pk_fma_f32 v[6:7], v[8:9], v[6:7], s[0:1] op_sel_hi:[0,1,1]
	s_mov_b32 s0, 0xae524e41
	;; [unrolled: 3-line block ×10, first 2 shown]
	s_mov_b32 s1, 0x3fea0796
	v_pk_fma_f32 v[6:7], v[8:9], v[6:7], s[0:1] op_sel_hi:[0,1,1]
	v_mov_b32_e32 v13, 0xa455b366
	s_mov_b32 s0, 0x24417dfb
	v_mov_b32_e32 v16, 0x262b4edc
	v_fmac_f32_e32 v13, 0x22564758, v8
	v_mov_b32_e32 v12, 0x24417dfb
	v_pk_fma_f32 v[16:17], v[8:9], s[0:1], v[16:17] neg_lo:[1,0,0] neg_hi:[1,0,0]
	s_mov_b32 s1, 0x2634d615
	v_pk_fma_f32 v[12:13], v[8:9], v[12:13], s[0:1] op_sel_hi:[0,1,1]
	s_mov_b32 s0, 0xa84ef2f0
	v_mov_b32_e32 v17, v13
	s_mov_b32 s1, 0xa820fa09
	v_pk_fma_f32 v[12:13], v[8:9], v[16:17], s[0:1] op_sel_hi:[0,1,1]
	s_mov_b32 s0, 0x2a53d0e5
	s_mov_b32 s1, 0x2a06836f
	v_pk_fma_f32 v[12:13], v[8:9], v[12:13], s[0:1] op_sel_hi:[0,1,1]
	s_mov_b32 s0, 0xac29d6bc
	;; [unrolled: 3-line block ×11, first 2 shown]
	s_mov_b32 s1, 0x38b2519b
	s_mov_b32 s18, 0xbe405aee
	v_pk_fma_f32 v[22:23], v[8:9], v[12:13], s[0:1] op_sel_hi:[0,1,1]
	v_div_scale_f32 v9, s[0:1], v0, v0, s18
	v_rcp_f32_e32 v12, v9
	v_mov_b32_e32 v1, 0x29ea7905
	v_fmac_f32_e32 v1, 0xa7e03286, v8
	v_fmaak_f32 v1, v8, v1, 0xab4098d2
	v_fma_f32 v13, -v9, v12, 1.0
	v_fmac_f32_e32 v12, v13, v12
	v_div_scale_f32 v13, vcc, s18, v0, s18
	v_mul_f32_e32 v16, v13, v12
	v_fma_f32 v17, -v9, v16, v13
	v_fmac_f32_e32 v16, v17, v12
	v_fma_f32 v9, -v9, v16, v13
	v_div_fmas_f32 v9, v9, v12, v16
	v_div_fixup_f32 v9, v9, v0, s18
	v_add_f32_e32 v9, 0x3e6b6fc1, v9
	v_div_scale_f32 v12, s[0:1], v0, v0, v9
	v_rcp_f32_e32 v13, v12
	v_fmaak_f32 v1, v8, v1, 0x2d8ab352
	v_fmaak_f32 v1, v8, v1, 0xafe71d52
	v_fmaak_f32 v1, v8, v1, 0x31d8074a
	v_fma_f32 v16, -v12, v13, 1.0
	v_fmac_f32_e32 v13, v16, v13
	v_div_scale_f32 v16, vcc, v9, v0, v9
	v_mul_f32_e32 v17, v16, v13
	v_fma_f32 v20, -v12, v17, v16
	v_fmac_f32_e32 v17, v20, v13
	v_fma_f32 v12, -v12, v17, v16
	v_div_fmas_f32 v12, v12, v13, v17
	v_div_fixup_f32 v9, v12, v0, v9
	v_add_f32_e32 v9, 0xbeff74bd, v9
	v_div_scale_f32 v12, s[0:1], v0, v0, v9
	v_rcp_f32_e32 v16, v12
	v_fmaak_f32 v1, v8, v1, 0xb3b26518
	v_fmaak_f32 v1, v8, v1, 0x35b6103b
	;; [unrolled: 1-line block ×3, first 2 shown]
	v_mul_f32_e32 v13, v8, v1
	v_fma_f32 v1, -v12, v16, 1.0
	v_fmac_f32_e32 v16, v1, v16
	v_div_scale_f32 v1, vcc, v9, v0, v9
	v_mul_f32_e32 v17, v1, v16
	v_fma_f32 v20, -v12, v17, v1
	v_fmac_f32_e32 v17, v20, v16
	v_fma_f32 v1, -v12, v17, v1
	v_mul_f32_e32 v12, 0xbfb8aa3b, v0
	s_mov_b32 s0, 0xbfb8aa3b
	v_rndne_f32_e32 v20, v12
	v_sub_f32_e32 v21, v12, v20
	v_fma_f32 v12, v0, s0, -v12
	v_fmamk_f32 v12, v0, 0xb2a5705f, v12
	v_add_f32_e32 v12, v21, v12
	v_div_fmas_f32 v1, v1, v16, v17
	s_mov_b32 s19, 0x3f490fdb
	v_exp_f32_e32 v21, v12
	v_div_fixup_f32 v12, v1, v0, v9
	v_div_scale_f32 v9, s[0:1], v0, v0, s19
	v_cvt_i32_f32_e32 v20, v20
	v_rcp_f32_e32 v16, v9
	s_mov_b32 s18, 0x42ce8ed0
	v_cmp_nlt_f32_e32 vcc, s18, v0
	v_ldexp_f32 v1, v21, v20
	v_fma_f32 v17, -v9, v16, 1.0
	v_cndmask_b32_e32 v1, 0, v1, vcc
	v_fmac_f32_e32 v16, v17, v16
	v_div_scale_f32 v17, vcc, s19, v0, s19
	v_mul_f32_e32 v20, v17, v16
	v_fma_f32 v21, -v9, v20, v17
	v_fmac_f32_e32 v20, v21, v16
	v_fma_f32 v9, -v9, v20, v17
	v_div_fmas_f32 v9, v9, v16, v20
	v_div_fixup_f32 v9, v9, v0, s19
	s_mov_b32 s1, 0xf800000
	v_mul_f32_e32 v16, 0x4f800000, v9
	v_cmp_gt_f32_e32 vcc, s1, v9
	s_mov_b32 s0, 0xc2b17218
	v_mov_b32_e32 v17, 0x7f800000
	v_cndmask_b32_e32 v9, v9, v16, vcc
	v_sqrt_f32_e32 v16, v9
	v_cmp_ngt_f32_e64 s[0:1], s0, v0
	s_nop 1
	v_cndmask_b32_e64 v0, v17, v1, s[0:1]
	v_add_u32_e32 v1, -1, v16
	v_fma_f32 v17, -v1, v16, v9
	v_cmp_ge_f32_e64 s[0:1], 0, v17
	v_add_u32_e32 v17, 1, v16
	s_nop 0
	v_cndmask_b32_e64 v1, v16, v1, s[0:1]
	v_fma_f32 v16, -v17, v16, v9
	v_cmp_lt_f32_e64 s[0:1], 0, v16
	s_nop 1
	v_cndmask_b32_e64 v1, v1, v17, s[0:1]
	v_mul_f32_e32 v16, 0x37800000, v1
	v_cndmask_b32_e32 v1, v1, v16, vcc
	v_mov_b32_e32 v16, 0x260
	s_mov_b32 s0, 0xb7b7d95a
	v_cmp_class_f32_e32 vcc, v9, v16
	s_mov_b32 s1, 0x3984541e
	v_pk_add_f32 v[12:13], v[12:13], s[0:1]
	v_cndmask_b32_e32 v16, v1, v9, vcc
	v_mov_b32_e32 v1, v8
	v_mov_b32_e32 v17, 0xbb40fe3a
	v_pk_fma_f32 v[0:1], v[0:1], v[12:13], v[16:17]
	s_nop 0
	v_sub_f32_e32 v0, v0, v23
	v_sub_f32_e32 v0, v0, v22
	v_fmaak_f32 v21, v1, v8, 0x3d7654f6
	v_sub_f32_e32 v20, v0, v21
                                        ; implicit-def: $vgpr0
.LBB0_57:
	s_andn2_saveexec_b64 s[18:19], s[2:3]
	s_cbranch_execz .LBB0_75
; %bb.58:
	s_mov_b32 s0, 0x41a00000
	v_cmp_ge_f32_e32 vcc, s0, v0
                                        ; implicit-def: $vgpr21
                                        ; implicit-def: $vgpr6_vgpr7
	s_and_saveexec_b64 s[0:1], vcc
	s_xor_b64 s[2:3], exec, s[0:1]
	s_cbranch_execz .LBB0_60
; %bb.59:
	s_mov_b32 s20, 0x3f490fdb
	v_div_scale_f32 v1, s[0:1], v0, v0, s20
	v_rcp_f32_e32 v4, v1
	v_div_scale_f32 v5, vcc, s20, v0, s20
	s_mov_b32 s0, 0xf800000
	v_fma_f32 v6, -v1, v4, 1.0
	v_fmac_f32_e32 v4, v6, v4
	v_mul_f32_e32 v6, v5, v4
	v_fma_f32 v7, -v1, v6, v5
	v_fmac_f32_e32 v6, v7, v4
	v_fma_f32 v1, -v1, v6, v5
	v_div_fmas_f32 v1, v1, v4, v6
	v_div_fixup_f32 v1, v1, v0, s20
	v_mul_f32_e32 v4, 0x4f800000, v1
	v_cmp_gt_f32_e32 vcc, s0, v1
	v_add_f32_e32 v12, 0xc18c0000, v0
	v_mov_b32_e32 v20, 0x259aec42
	v_cndmask_b32_e32 v1, v1, v4, vcc
	v_sqrt_f32_e32 v4, v1
	s_mov_b32 s20, 0x3e48f136
	v_add_u32_e32 v5, -1, v4
	v_fma_f32 v6, -v5, v4, v1
	v_cmp_ge_f32_e64 s[0:1], 0, v6
	v_add_u32_e32 v6, 1, v4
	s_nop 0
	v_cndmask_b32_e64 v5, v4, v5, s[0:1]
	v_fma_f32 v4, -v6, v4, v1
	v_cmp_lt_f32_e64 s[0:1], 0, v4
	s_nop 1
	v_cndmask_b32_e64 v4, v5, v6, s[0:1]
	v_mul_f32_e32 v5, 0x37800000, v4
	v_cndmask_b32_e32 v4, v4, v5, vcc
	v_mov_b32_e32 v5, 0x260
	v_cmp_class_f32_e32 vcc, v1, v5
	s_mov_b32 s0, 0x244964a5
	s_mov_b32 s1, 0x260fcd4b
	v_cndmask_b32_e32 v8, v4, v1, vcc
	v_mov_b32_e32 v4, 0xa5021e92
	v_mov_b32_e32 v5, 0xa5964d55
	v_pk_fma_f32 v[4:5], v[12:13], s[0:1], v[4:5] op_sel_hi:[0,1,1]
	s_mov_b32 s0, 0xa7dd9259
	s_mov_b32 s1, 0xa9af14ba
	v_pk_fma_f32 v[4:5], v[12:13], v[4:5], s[0:1] op_sel_hi:[0,1,1]
	s_mov_b32 s0, 0x29830f5a
	s_mov_b32 s1, 0x2b224d2b
	;; [unrolled: 3-line block ×12, first 2 shown]
	v_mov_b32_e32 v6, 0x28861042
	v_mov_b32_e32 v1, 0xa9fd4a43
	v_pk_fma_f32 v[6:7], v[12:13], s[0:1], v[6:7]
	v_pk_fma_f32 v[16:17], v[12:13], s[0:1], v[0:1] op_sel_hi:[0,1,1] neg_lo:[1,0,0] neg_hi:[1,0,0]
	s_mov_b32 s0, 0xaaf30573
	v_mov_b32_e32 v7, v17
	s_mov_b32 s1, 0x2c46e7a4
	v_pk_fma_f32 v[6:7], v[12:13], v[6:7], s[0:1] op_sel_hi:[0,1,1]
	s_mov_b32 s0, 0x2ba6fc04
	s_mov_b32 s1, 0xad5ed8a6
	v_pk_fma_f32 v[6:7], v[12:13], v[6:7], s[0:1] op_sel_hi:[0,1,1]
	s_mov_b32 s0, 0x2e4b015d
	;; [unrolled: 3-line block ×10, first 2 shown]
	s_mov_b32 s1, 0x3f746830
	v_pk_fma_f32 v[6:7], v[12:13], v[6:7], s[0:1] op_sel_hi:[0,1,1]
	v_mov_b32_e32 v17, 0x230b0101
	s_mov_b32 s0, 0x247fb206
	v_fmac_f32_e32 v17, 0xa15f6467, v12
	v_mov_b32_e32 v16, 0x247fb206
	v_pk_fma_f32 v[20:21], v[12:13], s[0:1], v[20:21] neg_lo:[1,0,0] neg_hi:[1,0,0]
	s_mov_b32 s1, 0xa5056e00
	v_pk_fma_f32 v[16:17], v[12:13], v[16:17], s[0:1] op_sel_hi:[0,1,1]
	s_mov_b32 s0, 0x28730492
	v_mov_b32_e32 v21, v17
	s_mov_b32 s1, 0x272dbeb2
	v_pk_fma_f32 v[16:17], v[12:13], v[20:21], s[0:1] op_sel_hi:[0,1,1]
	s_mov_b32 s0, 0xaa8d2834
	s_mov_b32 s1, 0xa92235dd
	v_pk_fma_f32 v[16:17], v[12:13], v[16:17], s[0:1] op_sel_hi:[0,1,1]
	s_mov_b32 s0, 0x2c08d21c
	;; [unrolled: 3-line block ×10, first 2 shown]
	s_mov_b32 s1, 0x384f453d
	v_pk_fma_f32 v[22:23], v[12:13], v[16:17], s[0:1] op_sel_hi:[0,1,1]
	v_div_scale_f32 v9, s[0:1], v0, v0, s20
	v_rcp_f32_e32 v13, v9
	v_mov_b32_e32 v1, 0x26a8205b
	v_fmac_f32_e32 v1, 0xa55706df, v12
	v_fmaak_f32 v1, v12, v1, 0x28e6eb32
	v_fma_f32 v16, -v9, v13, 1.0
	v_fmac_f32_e32 v13, v16, v13
	v_div_scale_f32 v16, vcc, s20, v0, s20
	v_mul_f32_e32 v17, v16, v13
	v_fma_f32 v20, -v9, v17, v16
	v_fmac_f32_e32 v17, v20, v13
	v_fma_f32 v9, -v9, v17, v16
	v_fmaak_f32 v1, v12, v1, 0xaafd3c12
	v_div_fmas_f32 v9, v9, v13, v17
	v_fmaak_f32 v1, v12, v1, 0x2bf86dd2
	v_div_fixup_f32 v9, v9, v0, s20
	v_fmaak_f32 v1, v12, v1, 0x2d1f1e53
	v_add_f32_e32 v9, 0xbefe708c, v9
	v_fmaak_f32 v1, v12, v1, 0x3009251a
	v_div_scale_f32 v13, s[0:1], v0, v0, v9
	v_fmaak_f32 v1, v12, v1, 0xb2b6136a
	v_rcp_f32_e32 v16, v13
	v_fmaak_f32 v1, v12, v1, 0x34d5d550
	v_fmaak_f32 v1, v12, v1, 0xb6b85841
	;; [unrolled: 1-line block ×3, first 2 shown]
	v_mul_f32_e32 v17, v12, v1
	v_fma_f32 v1, -v13, v16, 1.0
	v_fmac_f32_e32 v16, v1, v16
	v_div_scale_f32 v1, vcc, v9, v0, v9
	v_mul_f32_e32 v20, v1, v16
	v_fma_f32 v21, -v13, v20, v1
	v_fmac_f32_e32 v20, v21, v16
	v_fma_f32 v1, -v13, v20, v1
	v_mul_f32_e32 v13, 0xbfb8aa3b, v0
	s_mov_b32 s0, 0xbfb8aa3b
	v_rndne_f32_e32 v21, v13
	v_sub_f32_e32 v97, v13, v21
	v_fma_f32 v13, v0, s0, -v13
	v_fmamk_f32 v13, v0, 0xb2a5705f, v13
	v_add_f32_e32 v13, v97, v13
	v_exp_f32_e32 v13, v13
	v_cvt_i32_f32_e32 v21, v21
	v_div_fmas_f32 v1, v1, v16, v20
	s_mov_b32 s0, 0x42ce8ed0
	v_div_fixup_f32 v16, v1, v0, v9
	v_ldexp_f32 v1, v13, v21
	v_cmp_nlt_f32_e32 vcc, s0, v0
	s_mov_b32 s0, 0xc2b17218
	v_mov_b32_e32 v9, 0x7f800000
	v_cndmask_b32_e32 v1, 0, v1, vcc
	v_cmp_ngt_f32_e32 vcc, s0, v0
	s_mov_b32 s0, 0xb87c50a3
	s_mov_b32 s1, 0xbac24051
	v_cndmask_b32_e32 v0, v9, v1, vcc
	v_pk_add_f32 v[16:17], v[16:17], s[0:1]
	v_mov_b32_e32 v1, v12
	v_mov_b32_e32 v9, 0x3d4be9ee
	v_pk_fma_f32 v[20:21], v[0:1], v[16:17], v[8:9]
	s_nop 0
	v_sub_f32_e32 v0, v20, v21
	v_sub_f32_e32 v0, v0, v22
	;; [unrolled: 1-line block ×3, first 2 shown]
                                        ; implicit-def: $vgpr0
.LBB0_60:
	s_andn2_saveexec_b64 s[20:21], s[2:3]
	s_cbranch_execz .LBB0_74
; %bb.61:
	s_mov_b32 s0, 0x420c0000
	v_cmp_ge_f32_e32 vcc, s0, v0
                                        ; implicit-def: $vgpr21
                                        ; implicit-def: $vgpr6_vgpr7
	s_and_saveexec_b64 s[0:1], vcc
	s_xor_b64 s[2:3], exec, s[0:1]
	s_cbranch_execz .LBB0_67
; %bb.62:
	s_mov_b32 s0, 0x41c80000
	v_cmp_ge_f32_e32 vcc, s0, v0
                                        ; implicit-def: $vgpr17
	s_and_saveexec_b64 s[0:1], vcc
	s_xor_b64 s[0:1], exec, s[0:1]
	s_cbranch_execz .LBB0_64
; %bb.63:
	s_mov_b32 s24, 0x4681b030
	v_div_scale_f32 v4, s[22:23], v0, v0, s24
	v_rcp_f32_e32 v5, v4
	v_mov_b32_e32 v1, 0xb82007dc
	v_fmac_f32_e32 v1, 0x347b012a, v0
	v_fmaak_f32 v1, v0, v1, 0x3b664dec
	v_fma_f32 v6, -v4, v5, 1.0
	v_fmac_f32_e32 v5, v6, v5
	v_div_scale_f32 v6, vcc, s24, v0, s24
	v_mul_f32_e32 v7, v6, v5
	v_fma_f32 v8, -v4, v7, v6
	v_fmaak_f32 v1, v0, v1, 0xbe2a8916
	v_fmac_f32_e32 v7, v8, v5
	v_fmaak_f32 v1, v0, v1, 0x40999a1a
	v_fma_f32 v4, -v4, v7, v6
	v_fmaak_f32 v1, v0, v1, 0xc2aea219
	v_div_fmas_f32 v4, v4, v5, v7
	v_fmaak_f32 v1, v0, v1, 0x44746bc1
	v_div_fixup_f32 v4, v4, v0, s24
	v_fmac_f32_e32 v4, v0, v1
	v_add_f32_e32 v17, 0xc5c00653, v4
.LBB0_64:
	s_andn2_saveexec_b64 s[0:1], s[0:1]
; %bb.65:
	v_mov_b32_e32 v1, 0xb89f1e53
	v_fmac_f32_e32 v1, 0x36c0af5a, v0
	v_fmaak_f32 v1, v0, v1, 0x39767de4
	v_fmaak_f32 v1, v0, v1, 0xbb784221
	;; [unrolled: 1-line block ×5, first 2 shown]
; %bb.66:
	s_or_b64 exec, exec, s[0:1]
	s_mov_b32 s22, 0x3f490fdb
	v_div_scale_f32 v1, s[0:1], v0, v0, s22
	v_rcp_f32_e32 v4, v1
	v_div_scale_f32 v5, vcc, s22, v0, s22
	s_mov_b32 s0, 0xf800000
	v_fma_f32 v6, -v1, v4, 1.0
	v_fmac_f32_e32 v4, v6, v4
	v_mul_f32_e32 v6, v5, v4
	v_fma_f32 v7, -v1, v6, v5
	v_fmac_f32_e32 v6, v7, v4
	v_fma_f32 v1, -v1, v6, v5
	v_div_fmas_f32 v1, v1, v4, v6
	v_div_fixup_f32 v1, v1, v0, s22
	v_mul_f32_e32 v4, 0x4f800000, v1
	v_cmp_gt_f32_e32 vcc, s0, v1
	s_mov_b32 s22, 0xce7434c4
	s_mov_b32 s24, 0x4a194e71
	v_cndmask_b32_e32 v1, v1, v4, vcc
	v_sqrt_f32_e32 v4, v1
	s_nop 0
	v_add_u32_e32 v5, -1, v4
	v_fma_f32 v6, -v5, v4, v1
	v_cmp_ge_f32_e64 s[0:1], 0, v6
	v_add_u32_e32 v6, 1, v4
	s_nop 0
	v_cndmask_b32_e64 v5, v4, v5, s[0:1]
	v_fma_f32 v4, -v6, v4, v1
	v_cmp_lt_f32_e64 s[0:1], 0, v4
	s_nop 1
	v_cndmask_b32_e64 v4, v5, v6, s[0:1]
	v_mul_f32_e32 v5, 0x37800000, v4
	v_cndmask_b32_e32 v4, v4, v5, vcc
	v_mul_f32_e32 v5, 0xbfb8aa3b, v0
	s_mov_b32 s0, 0xbfb8aa3b
	v_rndne_f32_e32 v6, v5
	v_sub_f32_e32 v7, v5, v6
	v_fma_f32 v5, v0, s0, -v5
	v_fmamk_f32 v5, v0, 0xb2a5705f, v5
	v_add_f32_e32 v5, v7, v5
	v_exp_f32_e32 v5, v5
	v_cvt_i32_f32_e32 v6, v6
	v_mov_b32_e32 v7, 0x260
	v_cmp_class_f32_e32 vcc, v1, v7
	s_mov_b32 s0, 0x42ce8ed0
	v_mov_b32_e32 v7, 0x3da0e4fa
	v_cndmask_b32_e32 v8, v4, v1, vcc
	v_ldexp_f32 v1, v5, v6
	v_cmp_nlt_f32_e32 vcc, s0, v0
	s_mov_b32 s0, 0xc2b17218
	v_mov_b32_e32 v4, 0x7f800000
	v_cndmask_b32_e32 v1, 0, v1, vcc
	v_cmp_ngt_f32_e32 vcc, s0, v0
	s_mov_b32 s0, 0xbe14ca72
	v_mov_b32_e32 v6, 0x3aa6cffa
	s_mov_b32 s1, 0xbfab678a
	v_cndmask_b32_e32 v12, v4, v1, vcc
	v_fmac_f32_e32 v6, 0xb83af1e6, v0
	v_pk_add_f32 v[4:5], v[0:1], s[0:1] op_sel_hi:[0,1]
	s_mov_b32 s0, 0xbe72a452
	v_pk_fma_f32 v[20:21], v[0:1], v[6:7], s[0:1]
	v_div_scale_f32 v1, s[0:1], v0, v0, s22
	v_rcp_f32_e32 v9, v1
	s_mov_b32 s1, 0x40cb68be
	v_pk_fma_f32 v[6:7], v[0:1], v[6:7], s[0:1] op_sel_hi:[0,1,1] neg_lo:[1,0,0] neg_hi:[1,0,0]
	v_mov_b32_e32 v21, v7
	v_fma_f32 v6, -v1, v9, 1.0
	v_fmac_f32_e32 v9, v6, v9
	v_div_scale_f32 v6, vcc, s22, v0, s22
	v_mul_f32_e32 v7, v6, v9
	v_fma_f32 v13, -v1, v7, v6
	v_fmac_f32_e32 v7, v13, v9
	v_fma_f32 v1, -v1, v7, v6
	v_div_fmas_f32 v1, v1, v9, v7
	v_div_fixup_f32 v1, v1, v0, s22
	v_add_f32_e32 v1, 0x4db07acc, v1
	v_div_scale_f32 v9, s[22:23], v0, v0, v1
	v_rcp_f32_e32 v13, v9
	s_mov_b32 s0, 0x4176edd6
	s_mov_b32 s1, 0xc3a92602
	v_pk_fma_f32 v[6:7], v[0:1], v[20:21], s[0:1] op_sel_hi:[0,1,1]
	v_fma_f32 v16, -v9, v13, 1.0
	v_fmac_f32_e32 v13, v16, v13
	v_div_scale_f32 v16, vcc, v1, v0, v1
	v_mul_f32_e32 v20, v16, v13
	v_fma_f32 v21, -v9, v20, v16
	v_fmac_f32_e32 v20, v21, v13
	v_fma_f32 v9, -v9, v20, v16
	v_div_scale_f32 v16, s[22:23], v0, v0, s24
	v_rcp_f32_e32 v22, v16
	s_mov_b32 s0, 0xc402b325
	s_mov_b32 s1, 0x46438033
	v_div_fmas_f32 v9, v9, v13, v20
	v_pk_fma_f32 v[6:7], v[0:1], v[6:7], s[0:1] op_sel_hi:[0,1,1]
	v_div_fixup_f32 v21, v9, v0, v1
	v_fma_f32 v1, -v16, v22, 1.0
	v_fmac_f32_e32 v22, v1, v22
	v_div_scale_f32 v1, vcc, s24, v0, s24
	v_mul_f32_e32 v9, v1, v22
	v_fma_f32 v13, -v16, v9, v1
	v_fmac_f32_e32 v9, v13, v22
	v_fma_f32 v1, -v16, v9, v1
	v_div_fmas_f32 v1, v1, v22, v9
	v_div_fixup_f32 v20, v1, v0, s24
	s_mov_b32 s23, 0xcc5ff7d7
	v_pk_add_f32 v[22:23], v[20:21], s[22:23]
	s_mov_b32 s0, 0x46258c7d
	v_div_scale_f32 v1, s[22:23], v0, v0, v23
	v_rcp_f32_e32 v9, v1
	s_mov_b32 s1, 0xc89ab5f2
	v_pk_fma_f32 v[6:7], v[0:1], v[6:7], s[0:1] op_sel_hi:[0,1,1]
	s_mov_b32 s0, 0x495520f6
	v_fma_f32 v13, -v1, v9, 1.0
	v_fmac_f32_e32 v9, v13, v9
	v_div_scale_f32 v13, vcc, v23, v0, v23
	v_pk_add_f32 v[20:21], v[20:21], s[0:1] neg_lo:[1,0] neg_hi:[1,0]
	v_mul_f32_e32 v16, v13, v9
	v_fma_f32 v21, -v1, v16, v13
	v_fmac_f32_e32 v16, v21, v9
	v_fma_f32 v1, -v1, v16, v13
	v_div_scale_f32 v13, s[0:1], v0, v0, v20
	v_rcp_f32_e32 v22, v13
	v_div_fmas_f32 v1, v1, v9, v16
	v_div_fixup_f32 v21, v1, v0, v23
	s_mov_b32 s22, 0x3fab678a
	v_fma_f32 v1, -v13, v22, 1.0
	v_fmac_f32_e32 v22, v1, v22
	v_div_scale_f32 v1, vcc, v20, v0, v20
	v_mul_f32_e32 v9, v1, v22
	v_fma_f32 v16, -v13, v9, v1
	v_fmac_f32_e32 v9, v16, v22
	v_fma_f32 v1, -v13, v9, v1
	v_div_fmas_f32 v1, v1, v22, v9
	v_div_fixup_f32 v20, v1, v0, v20
	v_pk_fma_f32 v[6:7], v[0:1], v[6:7], v[20:21] op_sel_hi:[0,1,1]
	v_div_scale_f32 v1, s[0:1], v5, v5, s22
	v_rcp_f32_e32 v9, v1
	s_mov_b32 s0, 0xc7fc5531
	s_mov_b32 s1, 0x4aa45f3c
	;; [unrolled: 1-line block ×3, first 2 shown]
	v_fma_f32 v13, -v1, v9, 1.0
	v_fmac_f32_e32 v9, v13, v9
	v_div_scale_f32 v13, vcc, s22, v5, s22
	v_mul_f32_e32 v16, v13, v9
	v_fma_f32 v20, -v1, v16, v13
	v_fmac_f32_e32 v16, v20, v9
	v_pk_add_f32 v[6:7], v[6:7], s[0:1]
	v_fma_f32 v1, -v1, v16, v13
	v_div_scale_f32 v13, s[0:1], v4, v4, s23
	v_rcp_f32_e32 v20, v13
	v_div_fmas_f32 v1, v1, v9, v16
	v_div_fixup_f32 v5, v1, v5, s22
	s_mov_b32 s22, 0xcf2bbe86
	v_fma_f32 v1, -v13, v20, 1.0
	v_fmac_f32_e32 v20, v1, v20
	v_div_scale_f32 v1, vcc, s23, v4, s23
	v_mul_f32_e32 v9, v1, v20
	v_fma_f32 v16, -v13, v9, v1
	v_fmac_f32_e32 v9, v16, v20
	v_fma_f32 v1, -v13, v9, v1
	v_div_scale_f32 v13, s[0:1], v0, v0, s22
	v_rcp_f32_e32 v16, v13
	v_div_fmas_f32 v1, v1, v20, v9
	v_div_fixup_f32 v4, v1, v4, s23
	v_pk_fma_f32 v[4:5], v[12:13], v[6:7], v[4:5] op_sel_hi:[0,1,1]
	v_fma_f32 v1, -v13, v16, 1.0
	v_fmac_f32_e32 v16, v1, v16
	v_div_scale_f32 v1, vcc, s22, v0, s22
	v_mul_f32_e32 v6, v1, v16
	v_fma_f32 v7, -v13, v6, v1
	v_fmac_f32_e32 v6, v7, v16
	v_fma_f32 v1, -v13, v6, v1
	v_div_fmas_f32 v1, v1, v16, v6
	v_div_fixup_f32 v1, v1, v0, s22
	s_mov_b32 s0, 0xc07b535f
	v_add_f32_e32 v1, 0x4e7e374b, v1
	s_mov_b32 s1, 0xc1096b0d
	v_pk_add_f32 v[6:7], v[0:1], s[0:1] op_sel_hi:[0,1]
	v_mov_b32_e32 v21, 0xbeba9d10
	s_mov_b32 s0, 0x3e739c2f
	v_mov_b32_e32 v16, 0x41934c39
	v_fmac_f32_e32 v21, 0xba1d77bb, v0
	v_mov_b32_e32 v20, 0x3e739c2f
	v_pk_fma_f32 v[22:23], v[0:1], s[0:1], v[16:17] neg_lo:[1,0,0] neg_hi:[1,0,0]
	s_mov_b32 s1, 0x417bfe6a
	v_pk_fma_f32 v[20:21], v[0:1], v[20:21], s[0:1] op_sel_hi:[0,1,1]
	s_mov_b32 s0, 0xc47a8078
	v_mov_b32_e32 v23, v21
	s_mov_b32 s1, 0xc423bc6f
	v_pk_fma_f32 v[20:21], v[0:1], v[22:23], s[0:1] op_sel_hi:[0,1,1]
	v_div_scale_f32 v9, s[0:1], v0, v0, v1
	v_rcp_f32_e32 v13, v9
	s_mov_b32 s0, 0x47128b2f
	s_mov_b32 s1, 0x46857602
	;; [unrolled: 1-line block ×3, first 2 shown]
	v_fma_f32 v16, -v9, v13, 1.0
	v_fmac_f32_e32 v13, v16, v13
	v_div_scale_f32 v16, vcc, v1, v0, v1
	v_mul_f32_e32 v22, v16, v13
	v_fma_f32 v23, -v9, v22, v16
	v_fmac_f32_e32 v22, v23, v13
	v_pk_fma_f32 v[20:21], v[0:1], v[20:21], s[0:1] op_sel_hi:[0,1,1]
	v_fma_f32 v9, -v9, v22, v16
	v_div_scale_f32 v16, s[0:1], v0, v0, s22
	v_rcp_f32_e32 v23, v16
	v_div_fmas_f32 v9, v9, v13, v22
	v_div_fixup_f32 v22, v9, v0, v1
	s_mov_b32 s0, 0xcd2479c9
	v_fma_f32 v1, -v16, v23, 1.0
	v_fmac_f32_e32 v23, v1, v23
	v_div_scale_f32 v1, vcc, s22, v0, s22
	v_mul_f32_e32 v9, v1, v23
	v_fma_f32 v13, -v16, v9, v1
	v_fmac_f32_e32 v9, v13, v23
	v_fma_f32 v1, -v16, v9, v1
	v_div_fmas_f32 v1, v1, v23, v9
	v_div_fixup_f32 v23, v1, v0, s22
	s_mov_b32 s1, 0xcb7baf74
	v_pk_add_f32 v[22:23], v[22:23], s[0:1]
	s_mov_b32 s22, 0x41096b0d
	v_div_scale_f32 v1, s[0:1], v0, v0, v23
	v_rcp_f32_e32 v9, v1
	s_mov_b32 s0, 0xc968162b
	s_mov_b32 s1, 0xc88ddabe
	v_pk_fma_f32 v[20:21], v[0:1], v[20:21], s[0:1] op_sel_hi:[0,1,1]
	v_fma_f32 v13, -v1, v9, 1.0
	v_fmac_f32_e32 v9, v13, v9
	v_div_scale_f32 v13, vcc, v23, v0, v23
	v_mul_f32_e32 v16, v13, v9
	v_fma_f32 v97, -v1, v16, v13
	v_fmac_f32_e32 v16, v97, v9
	v_fma_f32 v1, -v1, v16, v13
	v_div_scale_f32 v13, s[0:1], v0, v0, v22
	v_rcp_f32_e32 v97, v13
	v_div_fmas_f32 v1, v1, v9, v16
	v_div_fixup_f32 v23, v1, v0, v23
	s_mov_b32 s23, 0x407b535f
	v_fma_f32 v1, -v13, v97, 1.0
	v_fmac_f32_e32 v97, v1, v97
	v_div_scale_f32 v1, vcc, v22, v0, v22
	v_mul_f32_e32 v9, v1, v97
	v_fma_f32 v16, -v13, v9, v1
	v_fmac_f32_e32 v9, v16, v97
	v_fma_f32 v1, -v13, v9, v1
	v_div_fmas_f32 v1, v1, v97, v9
	v_div_fixup_f32 v22, v1, v0, v22
	v_pk_fma_f32 v[20:21], v[0:1], v[20:21], v[22:23] op_sel_hi:[0,1,1]
	v_div_scale_f32 v1, s[0:1], v7, v7, s22
	v_rcp_f32_e32 v9, v1
	s_mov_b32 s0, 0x4b74c7d3
	s_mov_b32 s1, 0x4a3529ce
	v_pk_add_f32 v[20:21], v[20:21], s[0:1]
	v_fma_f32 v13, -v1, v9, 1.0
	v_fmac_f32_e32 v9, v13, v9
	v_div_scale_f32 v13, vcc, s22, v7, s22
	v_mul_f32_e32 v16, v13, v9
	v_fma_f32 v22, -v1, v16, v13
	v_fmac_f32_e32 v16, v22, v9
	v_fma_f32 v1, -v1, v16, v13
	v_div_scale_f32 v13, s[0:1], v6, v6, s23
	v_rcp_f32_e32 v22, v13
	v_div_fmas_f32 v1, v1, v9, v16
	v_div_fixup_f32 v7, v1, v7, s22
	s_mov_b32 s22, 0x4c46ea5e
	v_fma_f32 v1, -v13, v22, 1.0
	v_fmac_f32_e32 v22, v1, v22
	v_div_scale_f32 v1, vcc, s23, v6, s23
	v_mul_f32_e32 v9, v1, v22
	v_fma_f32 v16, -v13, v9, v1
	v_fmac_f32_e32 v9, v16, v22
	v_fma_f32 v1, -v13, v9, v1
	v_div_fmas_f32 v1, v1, v22, v9
	v_div_fixup_f32 v6, v1, v6, s23
	v_div_scale_f32 v1, s[0:1], v0, v0, s22
	v_rcp_f32_e32 v9, v1
	v_pk_fma_f32 v[6:7], v[12:13], v[20:21], v[6:7] op_sel_hi:[0,1,1]
	s_mov_b32 s0, 0x3c9ddd0b
	s_mov_b32 s1, 0x396c2b78
	v_fma_f32 v13, -v1, v9, 1.0
	v_fmac_f32_e32 v9, v13, v9
	v_div_scale_f32 v13, vcc, s22, v0, s22
	v_mul_f32_e32 v16, v13, v9
	v_fma_f32 v20, -v1, v16, v13
	v_fmac_f32_e32 v16, v20, v9
	v_fma_f32 v1, -v1, v16, v13
	v_div_fmas_f32 v1, v1, v9, v16
	v_div_fixup_f32 v1, v1, v0, s22
	v_add_f32_e32 v1, 0xcb4ca412, v1
	v_div_scale_f32 v9, s[22:23], v0, v0, v1
	v_rcp_f32_e32 v13, v9
	v_mov_b32_e32 v16, 0xbc1634c4
	v_fmac_f32_e32 v16, 0x3977e039, v0
	v_fmaak_f32 v16, v0, v16, 0x3eeca3b6
	v_fma_f32 v20, -v9, v13, 1.0
	v_fmac_f32_e32 v13, v20, v13
	v_div_scale_f32 v20, vcc, v1, v0, v1
	v_mul_f32_e32 v21, v20, v13
	v_fma_f32 v22, -v9, v21, v20
	v_fmac_f32_e32 v21, v22, v13
	v_fma_f32 v9, -v9, v21, v20
	v_div_fmas_f32 v9, v9, v13, v21
	v_div_fixup_f32 v1, v9, v0, v1
	v_add_f32_e32 v1, 0x498ac2e8, v1
	v_div_scale_f32 v9, s[22:23], v0, v0, v1
	v_rcp_f32_e32 v13, v9
	v_fmaak_f32 v16, v0, v16, 0xc19d8e16
	v_fmaak_f32 v16, v0, v16, 0x43f995a8
	;; [unrolled: 1-line block ×3, first 2 shown]
	v_fma_f32 v20, -v9, v13, 1.0
	v_fmac_f32_e32 v13, v20, v13
	v_div_scale_f32 v20, vcc, v1, v0, v1
	v_mul_f32_e32 v21, v20, v13
	v_fma_f32 v22, -v9, v21, v20
	v_fmac_f32_e32 v21, v22, v13
	v_fma_f32 v9, -v9, v21, v20
	v_div_fmas_f32 v9, v9, v13, v21
	v_div_fixup_f32 v1, v9, v0, v1
	v_fmac_f32_e32 v1, v0, v16
	v_add_f32_e32 v16, 0xc52ff030, v1
	v_pk_mul_f32 v[16:17], v[12:13], v[16:17] op_sel_hi:[0,1]
	s_mov_b32 s22, 0x4b6c15fd
	v_pk_fma_f32 v[22:23], v[8:9], s[0:1], v[16:17] op_sel_hi:[0,1,1]
	v_div_scale_f32 v1, s[0:1], v0, v0, s22
	v_rcp_f32_e32 v9, v1
	v_mov_b32_e32 v13, 0xbd10f50f
	v_fmac_f32_e32 v13, 0x3a3f52db, v0
	v_fmaak_f32 v13, v0, v13, 0x4004fd88
	v_fma_f32 v16, -v1, v9, 1.0
	v_fmac_f32_e32 v9, v16, v9
	v_div_scale_f32 v16, vcc, s22, v0, s22
	v_mul_f32_e32 v17, v16, v9
	v_fma_f32 v20, -v1, v17, v16
	v_fmac_f32_e32 v17, v20, v9
	v_fma_f32 v1, -v1, v17, v16
	v_div_fmas_f32 v1, v1, v9, v17
	v_div_fixup_f32 v1, v1, v0, s22
	v_add_f32_e32 v1, 0xcaa08b90, v1
	v_div_scale_f32 v9, s[0:1], v0, v0, v1
	v_rcp_f32_e32 v16, v9
	s_mov_b32 s22, 0x3e48f136
	v_fmaak_f32 v13, v0, v13, 0xc2c8edee
	v_fmaak_f32 v13, v0, v13, 0x454500fa
	v_fma_f32 v17, -v9, v16, 1.0
	v_fmac_f32_e32 v16, v17, v16
	v_div_scale_f32 v17, vcc, v1, v0, v1
	v_mul_f32_e32 v20, v17, v16
	v_fma_f32 v21, -v9, v20, v17
	v_fmac_f32_e32 v20, v21, v16
	v_div_scale_f32 v21, s[0:1], v0, v0, s22
	v_rcp_f32_e32 v97, v21
	v_fma_f32 v9, -v9, v20, v17
	v_div_fmas_f32 v9, v9, v16, v20
	v_fmaak_f32 v13, v0, v13, 0xc774f179
	v_fma_f32 v16, -v21, v97, 1.0
	v_fmac_f32_e32 v97, v16, v97
	v_div_scale_f32 v16, vcc, s22, v0, s22
	v_mul_f32_e32 v17, v16, v97
	v_fma_f32 v20, -v21, v17, v16
	v_fmac_f32_e32 v17, v20, v97
	v_fma_f32 v16, -v21, v17, v16
	v_div_fmas_f32 v16, v16, v97, v17
	v_div_fixup_f32 v16, v16, v0, s22
	v_add_f32_e32 v16, 0xbefe708c, v16
	v_div_scale_f32 v17, s[0:1], v0, v0, v16
	v_rcp_f32_e32 v20, v17
	v_div_fixup_f32 v1, v9, v0, v1
	v_fmac_f32_e32 v1, v0, v13
	s_mov_b32 s0, 0xb87c50a3
	v_fma_f32 v13, -v17, v20, 1.0
	v_fmac_f32_e32 v20, v13, v20
	v_div_scale_f32 v13, vcc, v16, v0, v16
	v_mul_f32_e32 v21, v13, v20
	v_fma_f32 v97, -v17, v21, v13
	v_fmac_f32_e32 v21, v97, v20
	v_fma_f32 v13, -v17, v21, v13
	v_div_fmas_f32 v13, v13, v20, v21
	v_div_fixup_f32 v0, v13, v0, v16
	s_mov_b32 s1, 0x493b49f6
	v_mul_f32_e32 v9, 0x3e701b7a, v8
	v_pk_add_f32 v[0:1], v[0:1], s[0:1]
	s_nop 0
	v_pk_fma_f32 v[20:21], v[12:13], v[0:1], v[8:9] op_sel_hi:[0,1,1]
	v_sub_f32_e32 v0, v20, v21
	v_sub_f32_e32 v0, v0, v22
	;; [unrolled: 1-line block ×3, first 2 shown]
                                        ; implicit-def: $vgpr0
.LBB0_67:
	s_andn2_saveexec_b64 s[22:23], s[2:3]
	s_cbranch_execz .LBB0_73
; %bb.68:
	s_mov_b32 s2, 0x3f490fdb
	v_div_scale_f32 v1, s[0:1], v0, v0, s2
	v_rcp_f32_e32 v4, v1
	v_div_scale_f32 v5, vcc, s2, v0, s2
	s_mov_b32 s0, 0xf800000
	v_fma_f32 v6, -v1, v4, 1.0
	v_fmac_f32_e32 v4, v6, v4
	v_mul_f32_e32 v6, v5, v4
	v_fma_f32 v7, -v1, v6, v5
	v_fmac_f32_e32 v6, v7, v4
	v_fma_f32 v1, -v1, v6, v5
	v_div_fmas_f32 v1, v1, v4, v6
	v_div_fixup_f32 v1, v1, v0, s2
	v_mul_f32_e32 v4, 0x4f800000, v1
	v_cmp_gt_f32_e32 vcc, s0, v1
	s_mov_b32 s0, 0x42540000
	v_cmp_ge_f32_e64 s[0:1], s0, v0
	v_cndmask_b32_e32 v1, v1, v4, vcc
	v_sqrt_f32_e32 v4, v1
                                        ; implicit-def: $vgpr21
	s_nop 0
	v_add_u32_e32 v5, -1, v4
	v_fma_f32 v6, -v5, v4, v1
	v_cmp_ge_f32_e64 s[2:3], 0, v6
	v_add_u32_e32 v6, 1, v4
	s_nop 0
	v_cndmask_b32_e64 v5, v4, v5, s[2:3]
	v_fma_f32 v4, -v6, v4, v1
	v_cmp_lt_f32_e64 s[2:3], 0, v4
	s_nop 1
	v_cndmask_b32_e64 v4, v5, v6, s[2:3]
	v_mul_f32_e32 v5, 0x37800000, v4
	v_cndmask_b32_e32 v4, v4, v5, vcc
	v_mov_b32_e32 v5, 0x260
	v_cmp_class_f32_e32 vcc, v1, v5
	s_nop 1
	v_cndmask_b32_e32 v8, v4, v1, vcc
                                        ; implicit-def: $vgpr6_vgpr7
	s_and_saveexec_b64 s[2:3], s[0:1]
	s_xor_b64 s[0:1], exec, s[2:3]
	s_cbranch_execz .LBB0_70
; %bb.69:
	v_mul_f32_e32 v1, 0xbfb8aa3b, v0
	s_mov_b32 s2, 0xbfb8aa3b
	v_rndne_f32_e32 v4, v1
	v_sub_f32_e32 v5, v1, v4
	v_fma_f32 v1, v0, s2, -v1
	v_fmamk_f32 v1, v0, 0xb2a5705f, v1
	v_add_f32_e32 v1, v5, v1
	v_exp_f32_e32 v1, v1
	v_cvt_i32_f32_e32 v4, v4
	s_mov_b32 s2, 0x42ce8ed0
	v_cmp_nlt_f32_e32 vcc, s2, v0
	s_mov_b32 s2, 0xc2b17218
	v_ldexp_f32 v1, v1, v4
	v_cndmask_b32_e32 v1, 0, v1, vcc
	v_mov_b32_e32 v9, 0x7f800000
	v_cmp_ngt_f32_e32 vcc, s2, v0
	v_frexp_mant_f32_e32 v4, v0
	s_mov_b32 s2, 0x3f2aaaab
	v_cndmask_b32_e32 v1, v9, v1, vcc
	v_cmp_eq_f32_e32 vcc, 1.0, v0
	s_mov_b32 s24, 0x42b17218
	s_mov_b32 s25, 0x3fb8aa3b
	v_cndmask_b32_e64 v97, 4.0, 1.0, vcc
	v_cmp_gt_f32_e32 vcc, s2, v4
	s_mov_b32 s2, 0x3f317218
	s_mov_b32 s3, 0x7f800000
	v_cndmask_b32_e64 v5, 1.0, 2.0, vcc
	v_mul_f32_e32 v4, v4, v5
	v_add_f32_e32 v7, 1.0, v4
	v_rcp_f32_e32 v20, v7
	v_add_f32_e32 v5, -1.0, v7
	v_sub_f32_e32 v13, v4, v5
	v_add_f32_e32 v5, -1.0, v4
	v_mul_f32_e32 v21, v5, v20
	v_mul_f32_e32 v6, v7, v21
	v_fma_f32 v12, v21, v7, -v6
	v_fmac_f32_e32 v12, v21, v13
	v_add_f32_e32 v4, v6, v12
	v_sub_f32_e32 v7, v5, v4
	v_pk_add_f32 v[16:17], v[4:5], v[6:7] neg_lo:[0,1] neg_hi:[0,1]
	v_mov_b32_e32 v13, v4
	v_pk_add_f32 v[4:5], v[16:17], v[12:13] neg_lo:[0,1] neg_hi:[0,1]
	v_mov_b32_e32 v12, 0x3e91f4c4
	v_add_f32_e32 v4, v4, v5
	v_add_f32_e32 v4, v7, v4
	v_mul_f32_e32 v5, v20, v4
	v_add_f32_e32 v4, v21, v5
	v_sub_f32_e32 v6, v4, v21
	v_sub_f32_e32 v22, v5, v6
	v_mul_f32_e32 v5, v4, v4
	v_fma_f32 v7, v4, v4, -v5
	v_add_f32_e32 v6, v22, v22
	v_fmac_f32_e32 v7, v4, v6
	v_add_f32_e32 v6, v5, v7
	v_fmac_f32_e32 v12, 0x3e76c4e1, v6
	v_fmaak_f32 v12, v6, v12, 0x3ecccdef
	v_sub_f32_e32 v5, v6, v5
	v_sub_f32_e32 v23, v7, v5
	v_mul_f32_e32 v5, v6, v12
	v_fma_f32 v7, v6, v12, -v5
	v_fmac_f32_e32 v7, v23, v12
	v_add_f32_e32 v12, v5, v7
	v_add_f32_e32 v13, 0x3f2aaaaa, v12
	v_sub_f32_e32 v5, v12, v5
	v_sub_f32_e32 v5, v7, v5
	v_add_f32_e32 v7, 0xbf2aaaaa, v13
	v_add_f32_e32 v5, 0x31739010, v5
	v_sub_f32_e32 v7, v12, v7
	v_pk_mul_f32 v[16:17], v[4:5], v[6:7]
	v_pk_add_f32 v[20:21], v[4:5], v[6:7]
	v_fma_f32 v12, v6, v4, -v16
	v_fmac_f32_e32 v12, v6, v22
	v_mov_b32_e32 v17, v21
	v_fmac_f32_e32 v12, v23, v4
	v_pk_add_f32 v[6:7], v[16:17], v[12:13]
	v_ldexp_f32 v98, v22, 1
	v_sub_f32_e32 v5, v6, v16
	v_sub_f32_e32 v5, v12, v5
	;; [unrolled: 1-line block ×3, first 2 shown]
	v_add_f32_e32 v17, v21, v12
	v_pk_mul_f32 v[12:13], v[6:7], v[6:7] op_sel:[0,1] op_sel_hi:[1,0]
	v_cvt_f64_f32_e32 v[20:21], v0
	v_frexp_exp_i32_f64_e32 v13, v[20:21]
	v_subbrev_co_u32_e32 v13, vcc, 0, v13, vcc
	v_cvt_f32_i32_e32 v13, v13
	v_fma_f32 v16, v6, v7, -v12
	v_fmac_f32_e32 v16, v6, v17
	v_fmac_f32_e32 v16, v5, v7
	v_mul_f32_e32 v6, 0x3f317218, v13
	v_fma_f32 v5, v13, s2, -v6
	v_fmamk_f32 v20, v13, 0xb102e308, v5
	v_ldexp_f32 v21, v4, 1
	v_add_f32_e32 v7, v12, v16
	v_pk_add_f32 v[4:5], v[6:7], v[20:21]
	v_mov_b32_e32 v22, v7
	v_mov_b32_e32 v23, v5
	;; [unrolled: 1-line block ×3, first 2 shown]
	v_pk_add_f32 v[12:13], v[22:23], v[12:13] neg_lo:[0,1] neg_hi:[0,1]
	v_mov_b32_e32 v17, v7
	v_pk_add_f32 v[12:13], v[16:17], v[12:13] neg_lo:[0,1] neg_hi:[0,1]
	v_mov_b32_e32 v21, v4
	v_add_f32_e32 v7, v98, v12
	v_add_f32_e32 v7, v7, v13
	v_pk_add_f32 v[12:13], v[4:5], v[6:7] neg_lo:[0,1] neg_hi:[0,1]
	v_pk_add_f32 v[16:17], v[4:5], v[6:7]
	v_mov_b32_e32 v6, v7
	v_mov_b32_e32 v13, v17
	v_pk_add_f32 v[22:23], v[20:21], v[12:13] neg_lo:[0,1] neg_hi:[0,1]
	v_pk_add_f32 v[12:13], v[20:21], v[12:13]
	v_mov_b32_e32 v7, v4
	v_pk_add_f32 v[20:21], v[12:13], v[4:5] op_sel:[1,0] op_sel_hi:[0,1] neg_lo:[0,1] neg_hi:[0,1]
	v_pk_add_f32 v[98:99], v[16:17], v[20:21] op_sel_hi:[1,0] neg_lo:[0,1] neg_hi:[0,1]
	v_mov_b32_e32 v16, v17
	v_mov_b32_e32 v17, v13
	v_pk_mov_b32 v[20:21], v[4:5], v[20:21] op_sel:[1,0]
	v_mov_b32_e32 v98, v22
	v_pk_add_f32 v[16:17], v[16:17], v[20:21] neg_lo:[0,1] neg_hi:[0,1]
	v_mov_b32_e32 v23, v13
	v_pk_add_f32 v[4:5], v[6:7], v[16:17] neg_lo:[0,1] neg_hi:[0,1]
	s_movk_i32 s2, 0x204
	v_pk_add_f32 v[6:7], v[98:99], v[4:5]
	s_nop 0
	v_pk_add_f32 v[16:17], v[6:7], v[6:7] op_sel:[0,1] op_sel_hi:[1,0]
	s_nop 0
	v_pk_add_f32 v[12:13], v[12:13], v[16:17] op_sel:[1,0] op_sel_hi:[0,1]
	v_mov_b32_e32 v7, v12
	v_pk_add_f32 v[20:21], v[6:7], v[22:23] neg_lo:[0,1] neg_hi:[0,1]
	v_mov_b32_e32 v5, v16
	v_sub_f32_e32 v6, v6, v20
	v_pk_add_f32 v[4:5], v[4:5], v[20:21] neg_lo:[0,1] neg_hi:[0,1]
	v_sub_f32_e32 v6, v22, v6
	v_add_f32_e32 v4, v4, v6
	v_add_f32_e32 v4, v4, v5
	;; [unrolled: 1-line block ×3, first 2 shown]
	v_sub_f32_e32 v6, v5, v12
	v_sub_f32_e32 v4, v4, v6
	v_mul_f32_e32 v6, v97, v5
	v_fma_f32 v5, v97, v5, -v6
	v_fmac_f32_e32 v5, v97, v4
	v_add_f32_e32 v4, v6, v5
	v_cmp_class_f32_e64 vcc, v6, s2
	v_sub_f32_e32 v7, v4, v6
	v_sub_f32_e32 v5, v5, v7
	v_cndmask_b32_e32 v4, v4, v6, vcc
	v_mov_b32_e32 v6, 0x37000000
	v_cmp_eq_f32_e32 vcc, s24, v4
	v_mov_b32_e32 v21, 0xbc14f7f1
	s_nop 0
	v_cndmask_b32_e32 v6, 0, v6, vcc
	v_sub_f32_e32 v7, v4, v6
	v_mul_f32_e32 v12, 0x3fb8aa3b, v7
	v_fma_f32 v13, v7, s25, -v12
	v_rndne_f32_e32 v16, v12
	v_fmamk_f32 v13, v7, 0x32a5705f, v13
	v_sub_f32_e32 v12, v12, v16
	v_add_f32_e32 v12, v12, v13
	v_exp_f32_e32 v12, v12
	v_cvt_i32_f32_e32 v13, v16
	v_cmp_neq_f32_e64 vcc, |v4|, s3
	s_mov_b32 s3, 0xc2ce8ed0
	s_nop 0
	v_cndmask_b32_e32 v4, 0, v5, vcc
	v_ldexp_f32 v5, v12, v13
	v_cmp_ngt_f32_e32 vcc, s3, v7
	v_add_f32_e32 v4, v6, v4
	v_mov_b32_e32 v12, 0xbd383f42
	v_cndmask_b32_e32 v5, 0, v5, vcc
	v_cmp_nlt_f32_e32 vcc, s24, v7
	s_mov_b32 s24, 0xc07b535f
	s_mov_b32 s25, 0xc1096b0d
	v_cndmask_b32_e32 v5, v9, v5, vcc
	v_fma_f32 v4, v5, v4, v5
	v_cmp_class_f32_e64 vcc, v5, s2
	s_mov_b32 s2, 0xba7d3098
	s_mov_b32 s3, 0xbb0f9cc4
	v_cndmask_b32_e32 v4, v4, v5, vcc
	v_pk_add_f32 v[6:7], v[0:1], s[24:25] op_sel_hi:[0,1]
	v_mov_b32_e32 v13, 0xbdf3ef08
	s_mov_b32 s24, 0x41096b0d
	v_and_b32_e32 v5, 0x7fffffff, v4
	v_pk_fma_f32 v[12:13], v[0:1], s[2:3], v[12:13] op_sel_hi:[0,1,1]
	v_div_scale_f32 v4, s[2:3], v7, v7, s24
	v_rcp_f32_e32 v9, v4
	s_mov_b32 s2, 0x3f1bd945
	s_mov_b32 s3, 0xbf400fa6
	s_mov_b32 s25, 0x407b535f
	v_fma_f32 v16, -v4, v9, 1.0
	v_fmac_f32_e32 v9, v16, v9
	v_div_scale_f32 v16, vcc, s24, v7, s24
	v_mul_f32_e32 v17, v16, v9
	v_fma_f32 v20, -v4, v17, v16
	v_fmac_f32_e32 v17, v20, v9
	v_pk_fma_f32 v[12:13], v[0:1], v[12:13], s[2:3] op_sel_hi:[0,1,1]
	v_fma_f32 v4, -v4, v17, v16
	v_div_scale_f32 v16, s[2:3], v6, v6, s25
	v_rcp_f32_e32 v20, v16
	v_div_fmas_f32 v4, v4, v9, v17
	v_div_fixup_f32 v7, v4, v7, s24
	s_mov_b32 s2, 0xb82af128
	v_fma_f32 v4, -v16, v20, 1.0
	v_fmac_f32_e32 v20, v4, v20
	v_div_scale_f32 v4, vcc, s25, v6, s25
	v_mul_f32_e32 v9, v4, v20
	v_fma_f32 v17, -v16, v9, v4
	v_fmac_f32_e32 v9, v17, v20
	v_fma_f32 v4, -v16, v9, v4
	v_div_fmas_f32 v4, v4, v20, v9
	v_div_fixup_f32 v6, v4, v6, s25
	s_mov_b32 s24, 0xbe14ca72
	s_mov_b32 s25, 0xbfab678a
	;; [unrolled: 1-line block ×3, first 2 shown]
	v_pk_add_f32 v[16:17], v[0:1], s[24:25] op_sel_hi:[0,1]
	v_mov_b32_e32 v20, 0xba3493bb
	s_mov_b32 s24, 0x3fab678a
	v_pk_fma_f32 v[20:21], v[0:1], s[2:3], v[20:21] op_sel_hi:[0,1,1]
	v_div_scale_f32 v4, s[2:3], v17, v17, s24
	v_rcp_f32_e32 v9, v4
	s_mov_b32 s2, 0x3c8f228e
	s_mov_b32 s3, 0x3e3cc2c7
	;; [unrolled: 1-line block ×3, first 2 shown]
	v_fma_f32 v22, -v4, v9, 1.0
	v_fmac_f32_e32 v9, v22, v9
	v_div_scale_f32 v22, vcc, s24, v17, s24
	v_mul_f32_e32 v23, v22, v9
	v_fma_f32 v97, -v4, v23, v22
	v_fmac_f32_e32 v23, v97, v9
	v_pk_fma_f32 v[20:21], v[0:1], v[20:21], s[2:3] op_sel_hi:[0,1,1]
	v_fma_f32 v4, -v4, v23, v22
	v_div_scale_f32 v22, s[2:3], v16, v16, s25
	v_rcp_f32_e32 v97, v22
	v_div_fmas_f32 v4, v4, v9, v23
	v_div_fixup_f32 v17, v4, v17, s24
	s_mov_b32 s2, 0x395a69c1
	v_fma_f32 v4, -v22, v97, 1.0
	v_fmac_f32_e32 v97, v4, v97
	v_div_scale_f32 v4, vcc, s25, v16, s25
	v_mul_f32_e32 v9, v4, v97
	v_fma_f32 v23, -v22, v9, v4
	v_fmac_f32_e32 v9, v23, v97
	v_fma_f32 v4, -v22, v9, v4
	v_div_fmas_f32 v4, v4, v97, v9
	s_mov_b32 s3, 0x36c17c4f
	v_mov_b32_e32 v22, 0xbb77644e
	v_mov_b32_e32 v23, 0xb8a5812b
	v_div_fixup_f32 v16, v4, v16, s25
	v_pk_fma_f32 v[22:23], v[0:1], s[2:3], v[22:23] op_sel_hi:[0,1,1]
	s_mov_b32 s2, 0x3cabea3c
	v_mov_b32_e32 v4, 0xbc4f9ac2
	s_mov_b32 s3, 0x39ac1f68
	v_fmac_f32_e32 v4, 0x3a219432, v0
	v_pk_fma_f32 v[22:23], v[0:1], v[22:23], s[2:3] op_sel_hi:[0,1,1]
	v_pk_mul_f32 v[0:1], v[0:1], v[4:5]
	s_mov_b32 s24, 0x3c9ddd0b
	v_pk_fma_f32 v[6:7], v[12:13], v[0:1], v[6:7] op_sel:[0,1,0]
	v_pk_fma_f32 v[4:5], v[20:21], v[0:1], v[16:17] op_sel:[0,1,0]
	v_pk_mul_f32 v[12:13], v[22:23], v[0:1] op_sel:[0,1]
	v_add_f32_e32 v0, 0x3da6cf84, v0
	v_mul_f32_e32 v0, v0, v1
	s_mov_b32 s25, 0x396c2b78
	v_fmamk_f32 v21, v8, 0x3e701b7a, v0
	v_pk_fma_f32 v[22:23], v[8:9], s[24:25], v[12:13] op_sel_hi:[0,1,1]
	v_sub_f32_e32 v0, v8, v21
	v_sub_f32_e32 v0, v0, v22
	;; [unrolled: 1-line block ×3, first 2 shown]
                                        ; implicit-def: $vgpr0
                                        ; implicit-def: $vgpr8
.LBB0_70:
	s_andn2_saveexec_b64 s[0:1], s[0:1]
	s_cbranch_execz .LBB0_72
; %bb.71:
	s_mov_b32 s2, 0xbe14ca72
	s_mov_b32 s3, 0xbfab678a
	v_pk_add_f32 v[4:5], v[0:1], s[2:3] op_sel_hi:[0,1]
	s_mov_b32 s24, 0x3fab678a
	v_div_scale_f32 v1, s[2:3], v5, v5, s24
	v_rcp_f32_e32 v6, v1
	s_mov_b32 s25, 0x3e14ca72
	v_mul_f32_e32 v21, 0x3e701b7a, v8
	v_fma_f32 v7, -v1, v6, 1.0
	v_fmac_f32_e32 v6, v7, v6
	v_div_scale_f32 v7, vcc, s24, v5, s24
	v_mul_f32_e32 v9, v7, v6
	v_fma_f32 v12, -v1, v9, v7
	v_fmac_f32_e32 v9, v12, v6
	v_fma_f32 v1, -v1, v9, v7
	v_div_scale_f32 v7, s[2:3], v4, v4, s25
	v_rcp_f32_e32 v12, v7
	v_div_fmas_f32 v1, v1, v6, v9
	v_div_fixup_f32 v5, v1, v5, s24
	s_mov_b32 s2, 0xc07b535f
	v_fma_f32 v1, -v7, v12, 1.0
	v_fmac_f32_e32 v12, v1, v12
	v_div_scale_f32 v1, vcc, s25, v4, s25
	v_mul_f32_e32 v6, v1, v12
	v_fma_f32 v9, -v7, v6, v1
	v_fmac_f32_e32 v6, v9, v12
	s_mov_b32 s3, 0xc1096b0d
	v_fma_f32 v7, -v7, v6, v1
	v_pk_add_f32 v[0:1], v[0:1], s[2:3] op_sel_hi:[0,1]
	s_mov_b32 s24, 0x41096b0d
	v_div_scale_f32 v9, s[2:3], v1, v1, s24
	v_rcp_f32_e32 v13, v9
	v_div_fmas_f32 v6, v7, v12, v6
	v_div_fixup_f32 v4, v6, v4, s25
	s_mov_b32 s25, 0x407b535f
	v_fma_f32 v6, -v9, v13, 1.0
	v_fmac_f32_e32 v13, v6, v13
	v_div_scale_f32 v6, vcc, s24, v1, s24
	v_mul_f32_e32 v7, v6, v13
	v_fma_f32 v12, -v9, v7, v6
	v_fmac_f32_e32 v7, v12, v13
	v_fma_f32 v6, -v9, v7, v6
	v_div_scale_f32 v9, s[2:3], v0, v0, s25
	v_rcp_f32_e32 v12, v9
	v_div_fmas_f32 v6, v6, v13, v7
	v_div_fixup_f32 v7, v6, v1, s24
	s_mov_b32 s2, 0x3c9ddd0b
	v_fma_f32 v1, -v9, v12, 1.0
	v_fmac_f32_e32 v12, v1, v12
	v_div_scale_f32 v1, vcc, s25, v0, s25
	v_mul_f32_e32 v6, v1, v12
	v_fma_f32 v13, -v9, v6, v1
	v_fmac_f32_e32 v6, v13, v12
	v_fma_f32 v1, -v9, v6, v1
	v_div_fmas_f32 v1, v1, v12, v6
	s_mov_b32 s3, 0x396c2b78
	v_div_fixup_f32 v6, v1, v0, s25
	v_pk_mul_f32 v[22:23], v[8:9], s[2:3] op_sel_hi:[0,1]
	v_fmamk_f32 v0, v8, 0xbe701b7a, v8
	v_sub_f32_e32 v0, v0, v22
	v_sub_f32_e32 v20, v0, v23
.LBB0_72:
	s_or_b64 exec, exec, s[0:1]
.LBB0_73:
	s_or_b64 exec, exec, s[22:23]
.LBB0_74:
	s_or_b64 exec, exec, s[20:21]
.LBB0_75:
	s_or_b64 exec, exec, s[18:19]
.LBB0_76:
	s_or_b64 exec, exec, s[16:17]
.LBB0_77:
	s_or_b64 exec, exec, s[14:15]
.LBB0_78:
	s_or_b64 exec, exec, s[12:13]
.LBB0_79:
	s_or_b64 exec, exec, s[10:11]
	scratch_store_dwordx4 off, v[4:7], s32 offset:112
	scratch_store_dwordx4 off, v[20:23], s32 offset:144
.LBB0_80:
	s_or_b64 exec, exec, s[8:9]
.LBB0_81:
	s_or_b64 exec, exec, s[6:7]
                                        ; implicit-def: $vgpr0
.LBB0_82:
	s_andn2_saveexec_b64 s[2:3], s[4:5]
	s_cbranch_execz .LBB0_221
; %bb.83:
	s_mov_b32 s0, 0x34a10fb0
	v_cmp_ngt_f32_e32 vcc, s0, v0
                                        ; implicit-def: $vgpr8
                                        ; implicit-def: $vgpr5
                                        ; implicit-def: $vgpr6_vgpr7
                                        ; implicit-def: $vgpr16
	s_and_saveexec_b64 s[0:1], vcc
	s_xor_b64 s[4:5], exec, s[0:1]
	s_cbranch_execz .LBB0_202
; %bb.84:
	v_cmp_ngt_f32_e32 vcc, 1.0, v0
                                        ; implicit-def: $vgpr8
                                        ; implicit-def: $vgpr5
                                        ; implicit-def: $vgpr6_vgpr7
                                        ; implicit-def: $vgpr16
	s_and_saveexec_b64 s[0:1], vcc
	s_xor_b64 s[6:7], exec, s[0:1]
	s_cbranch_execz .LBB0_188
; %bb.85:
	s_mov_b32 s0, 0x40400000
	v_cmp_ngt_f32_e32 vcc, s0, v0
                                        ; implicit-def: $vgpr8
                                        ; implicit-def: $vgpr5
                                        ; implicit-def: $vgpr6_vgpr7
                                        ; implicit-def: $vgpr16
	s_and_saveexec_b64 s[0:1], vcc
	s_xor_b64 s[8:9], exec, s[0:1]
	s_cbranch_execz .LBB0_174
; %bb.86:
	s_mov_b32 s0, 0x40a00000
	v_cmp_ngt_f32_e32 vcc, s0, v0
	;; [unrolled: 10-line block ×5, first 2 shown]
                                        ; implicit-def: $vgpr8
                                        ; implicit-def: $vgpr5
                                        ; implicit-def: $vgpr6_vgpr7
                                        ; implicit-def: $vgpr16
	s_and_saveexec_b64 s[0:1], vcc
	s_xor_b64 s[16:17], exec, s[0:1]
	s_cbranch_execz .LBB0_111
; %bb.90:
	s_mov_b32 s18, 0x3f490fdb
	v_div_scale_f32 v1, s[0:1], v0, v0, s18
	v_rcp_f32_e32 v4, v1
	v_div_scale_f32 v5, vcc, s18, v0, s18
	s_mov_b32 s0, 0xf800000
	v_fma_f32 v6, -v1, v4, 1.0
	v_fmac_f32_e32 v4, v6, v4
	v_mul_f32_e32 v6, v5, v4
	v_fma_f32 v7, -v1, v6, v5
	v_fmac_f32_e32 v6, v7, v4
	v_fma_f32 v1, -v1, v6, v5
	v_div_fmas_f32 v1, v1, v4, v6
	v_div_fixup_f32 v1, v1, v0, s18
	v_mul_f32_e32 v4, 0x4f800000, v1
	v_cmp_gt_f32_e32 vcc, s0, v1
                                        ; implicit-def: $vgpr8
                                        ; implicit-def: $vgpr16
	s_nop 1
	v_cndmask_b32_e32 v1, v1, v4, vcc
	v_sqrt_f32_e32 v4, v1
	s_nop 0
	v_add_u32_e32 v5, -1, v4
	v_fma_f32 v6, -v5, v4, v1
	v_cmp_ge_f32_e64 s[0:1], 0, v6
	v_add_u32_e32 v6, 1, v4
	s_nop 0
	v_cndmask_b32_e64 v5, v4, v5, s[0:1]
	v_fma_f32 v4, -v6, v4, v1
	v_cmp_lt_f32_e64 s[0:1], 0, v4
	s_nop 1
	v_cndmask_b32_e64 v4, v5, v6, s[0:1]
	v_mul_f32_e32 v5, 0x37800000, v4
	v_cndmask_b32_e32 v4, v4, v5, vcc
	v_mov_b32_e32 v5, 0x260
	v_cmp_class_f32_e32 vcc, v1, v5
                                        ; implicit-def: $vgpr6_vgpr7
	s_nop 1
	v_cndmask_b32_e32 v5, v4, v1, vcc
	v_cmp_lt_i32_e32 vcc, 0, v32
	s_and_saveexec_b64 s[0:1], vcc
	s_xor_b64 s[0:1], exec, s[0:1]
	s_cbranch_execz .LBB0_106
; %bb.91:
	v_cmp_lt_i32_e32 vcc, 1, v32
                                        ; implicit-def: $vgpr8
                                        ; implicit-def: $vgpr6_vgpr7
                                        ; implicit-def: $vgpr16
	s_and_saveexec_b64 s[18:19], vcc
	s_xor_b64 s[18:19], exec, s[18:19]
	s_cbranch_execz .LBB0_99
; %bb.92:
	v_mov_b32_e32 v8, 0
	v_mov_b32_e32 v9, v8
	v_cmp_eq_u32_e32 vcc, 2, v32
	v_mov_b64_e32 v[6:7], v[8:9]
	v_mov_b32_e32 v16, v8
	s_and_saveexec_b64 s[20:21], vcc
	s_cbranch_execz .LBB0_98
; %bb.93:
	s_mov_b32 s22, 0x423c0000
	v_cmp_ngt_f32_e32 vcc, s22, v0
                                        ; implicit-def: $vgpr8
                                        ; implicit-def: $vgpr6_vgpr7
                                        ; implicit-def: $vgpr16
	s_and_saveexec_b64 s[22:23], vcc
	s_xor_b64 s[22:23], exec, s[22:23]
	s_cbranch_execz .LBB0_95
; %bb.94:
	s_mov_b32 s24, 0xbe42ba39
	s_mov_b32 s25, 0xbfe46a42
	v_pk_add_f32 v[6:7], v[0:1], s[24:25] op_sel_hi:[0,1]
	s_mov_b32 s26, 0x3fe46a42
	v_div_scale_f32 v1, s[24:25], v7, v7, s26
	v_rcp_f32_e32 v4, v1
	s_mov_b32 s27, 0x3e42ba39
	v_add_f32_e32 v0, 0xc0b0cf9e, v0
	v_fma_f32 v8, -v1, v4, 1.0
	v_fmac_f32_e32 v4, v8, v4
	v_div_scale_f32 v8, vcc, s26, v7, s26
	v_mul_f32_e32 v9, v8, v4
	v_fma_f32 v12, -v1, v9, v8
	v_fmac_f32_e32 v9, v12, v4
	v_fma_f32 v1, -v1, v9, v8
	v_div_scale_f32 v8, s[24:25], v6, v6, s27
	v_rcp_f32_e32 v12, v8
	v_div_fmas_f32 v1, v1, v4, v9
	v_div_fixup_f32 v7, v1, v7, s26
	s_mov_b32 s26, 0x40b0cf9e
	v_fma_f32 v1, -v8, v12, 1.0
	v_fmac_f32_e32 v12, v1, v12
	v_div_scale_f32 v1, vcc, s27, v6, s27
	v_mul_f32_e32 v4, v1, v12
	v_fma_f32 v9, -v8, v4, v1
	v_fmac_f32_e32 v4, v9, v12
	v_fma_f32 v1, -v8, v4, v1
	v_div_scale_f32 v8, s[24:25], v0, v0, s26
	v_rcp_f32_e32 v9, v8
	v_div_fmas_f32 v1, v1, v12, v4
	v_div_fixup_f32 v6, v1, v6, s27
	s_mov_b32 s24, 0x3e357c2c
	v_fma_f32 v1, -v8, v9, 1.0
	v_fmac_f32_e32 v9, v1, v9
	v_div_scale_f32 v1, vcc, s26, v0, s26
	v_mul_f32_e32 v4, v1, v9
	v_fma_f32 v12, -v8, v4, v1
	v_fmac_f32_e32 v4, v12, v9
	v_fma_f32 v1, -v8, v4, v1
	v_div_fmas_f32 v1, v1, v9, v4
	v_div_fixup_f32 v16, v1, v0, s26
	v_mov_b32_e32 v0, v5
	s_mov_b32 s25, 0x3ba77ef2
	v_pk_mul_f32 v[8:9], v[0:1], s[24:25] op_sel_hi:[0,1]
	v_sub_f32_e32 v0, v5, v8
	v_sub_f32_e32 v5, v0, v9
                                        ; implicit-def: $vgpr0
.LBB0_95:
	s_andn2_saveexec_b64 s[22:23], s[22:23]
	s_cbranch_execz .LBB0_97
; %bb.96:
	v_mul_f32_e32 v1, 0xbfb8aa3b, v0
	s_mov_b32 s24, 0xbfb8aa3b
	v_rndne_f32_e32 v4, v1
	v_sub_f32_e32 v6, v1, v4
	v_fma_f32 v1, v0, s24, -v1
	v_fmamk_f32 v1, v0, 0xb2a5705f, v1
	v_add_f32_e32 v1, v6, v1
	v_exp_f32_e32 v1, v1
	v_cvt_i32_f32_e32 v4, v4
	s_mov_b32 s24, 0x42ce8ed0
	v_cmp_nlt_f32_e32 vcc, s24, v0
	s_mov_b32 s24, 0xc2b17218
	v_ldexp_f32 v1, v1, v4
	s_mov_b32 s26, 0xbe42ba39
	v_cndmask_b32_e32 v1, 0, v1, vcc
	v_cmp_ngt_f32_e32 vcc, s24, v0
	s_mov_b32 s24, 0xc0ec7fab
	s_mov_b32 s27, 0xbfe46a42
	v_mov_b32_e32 v4, 0x7f800000
	s_mov_b32 s25, 0xc293bec9
	v_pk_add_f32 v[6:7], v[0:1], s[26:27] op_sel_hi:[0,1]
	v_mov_b32_e32 v8, 0x43a0a8c0
	v_mov_b32_e32 v9, 0x4543fb32
	s_mov_b32 s26, 0x3fe46a42
	v_cndmask_b32_e32 v4, v4, v1, vcc
	v_pk_fma_f32 v[8:9], v[0:1], s[24:25], v[8:9] op_sel_hi:[0,1,1]
	v_div_scale_f32 v1, s[24:25], v7, v7, s26
	v_rcp_f32_e32 v12, v1
	s_mov_b32 s24, 0xc579a564
	s_mov_b32 s25, 0xc7171e49
	;; [unrolled: 1-line block ×3, first 2 shown]
	v_fma_f32 v13, -v1, v12, 1.0
	v_fmac_f32_e32 v12, v13, v12
	v_div_scale_f32 v13, vcc, s26, v7, s26
	v_mul_f32_e32 v16, v13, v12
	v_fma_f32 v17, -v1, v16, v13
	v_fmac_f32_e32 v16, v17, v12
	v_pk_fma_f32 v[8:9], v[0:1], v[8:9], s[24:25] op_sel_hi:[0,1,1]
	v_fma_f32 v1, -v1, v16, v13
	v_div_scale_f32 v13, s[24:25], v6, v6, s27
	v_rcp_f32_e32 v17, v13
	v_div_fmas_f32 v1, v1, v12, v16
	v_div_fixup_f32 v7, v1, v7, s26
	s_mov_b32 s26, 0x40b0cf9e
	v_fma_f32 v1, -v13, v17, 1.0
	v_fmac_f32_e32 v17, v1, v17
	v_div_scale_f32 v1, vcc, s27, v6, s27
	v_mul_f32_e32 v12, v1, v17
	v_fma_f32 v16, -v13, v12, v1
	v_fmac_f32_e32 v12, v16, v17
	v_fma_f32 v1, -v13, v12, v1
	v_div_fmas_f32 v1, v1, v17, v12
	v_div_fixup_f32 v6, v1, v6, s27
	v_add_f32_e32 v1, 0xc0b0cf9e, v0
	v_pk_fma_f32 v[6:7], v[4:5], v[8:9], v[6:7] op_sel_hi:[0,1,1]
	v_div_scale_f32 v8, s[24:25], v1, v1, s26
	v_rcp_f32_e32 v9, v8
	v_mov_b32_e32 v12, 0x462324de
	v_fmac_f32_e32 v12, 0xc383e013, v0
	v_fmaak_f32 v12, v0, v12, 0xc7fa2f4a
	v_fma_f32 v13, -v8, v9, 1.0
	v_fmac_f32_e32 v9, v13, v9
	v_div_scale_f32 v13, vcc, s26, v1, s26
	v_mul_f32_e32 v16, v13, v9
	v_fma_f32 v17, -v8, v16, v13
	v_fmac_f32_e32 v16, v17, v9
	v_fma_f32 v8, -v8, v16, v13
	v_div_fmas_f32 v8, v8, v9, v16
	v_div_fixup_f32 v16, v8, v1, s26
	v_mov_b32_e32 v9, 0xc104e7e9
	s_mov_b32 s26, 0xc5367ce7
	v_fmac_f32_e32 v9, 0x3e1be9c5, v0
	v_mov_b32_e32 v8, 0x42760770
	s_mov_b32 s27, 0x4340fa35
	v_pk_fma_f32 v[8:9], v[0:1], v[8:9], s[26:27] op_sel_hi:[0,1,1]
	s_mov_b32 s26, 0x4714bf6e
	s_mov_b32 s27, 0xc4d1bc23
	s_mov_b32 s24, 0x3e357c2c
	v_pk_fma_f32 v[0:1], v[0:1], v[8:9], s[26:27] op_sel_hi:[0,1,1]
	v_fmac_f32_e32 v16, v4, v12
	v_mov_b32_e32 v12, v5
	s_mov_b32 s25, 0x3ba77ef2
	v_pk_mul_f32 v[0:1], v[4:5], v[0:1] op_sel_hi:[0,1]
	v_pk_fma_f32 v[8:9], v[12:13], s[24:25], v[0:1] op_sel_hi:[0,1,1]
	v_sub_f32_e32 v0, v5, v8
	v_sub_f32_e32 v5, v0, v9
.LBB0_97:
	s_or_b64 exec, exec, s[22:23]
.LBB0_98:
	s_or_b64 exec, exec, s[20:21]
                                        ; implicit-def: $vgpr0
.LBB0_99:
	s_andn2_saveexec_b64 s[18:19], s[18:19]
	s_cbranch_execz .LBB0_105
; %bb.100:
	s_mov_b32 s20, 0x42200000
	v_cmp_ngt_f32_e32 vcc, s20, v0
                                        ; implicit-def: $vgpr8
                                        ; implicit-def: $vgpr6_vgpr7
	s_and_saveexec_b64 s[20:21], vcc
	s_xor_b64 s[20:21], exec, s[20:21]
	s_cbranch_execz .LBB0_102
; %bb.101:
	s_mov_b32 s22, 0xbe8cee3d
	s_mov_b32 s23, 0xc02e6238
	v_pk_add_f32 v[0:1], v[0:1], s[22:23] op_sel_hi:[0,1]
	s_mov_b32 s24, 0x402e6238
	v_div_scale_f32 v4, s[22:23], v1, v1, s24
	v_rcp_f32_e32 v6, v4
	s_mov_b32 s25, 0x3e8cee3d
	v_fma_f32 v7, -v4, v6, 1.0
	v_fmac_f32_e32 v6, v7, v6
	v_div_scale_f32 v7, vcc, s24, v1, s24
	v_mul_f32_e32 v8, v7, v6
	v_fma_f32 v9, -v4, v8, v7
	v_fmac_f32_e32 v8, v9, v6
	v_div_scale_f32 v9, s[22:23], v0, v0, s25
	v_rcp_f32_e32 v12, v9
	v_fma_f32 v4, -v4, v8, v7
	v_div_fmas_f32 v4, v4, v6, v8
	v_div_fixup_f32 v7, v4, v1, s24
	v_fma_f32 v1, -v9, v12, 1.0
	v_fmac_f32_e32 v12, v1, v12
	v_div_scale_f32 v1, vcc, s25, v0, s25
	v_mul_f32_e32 v4, v1, v12
	v_fma_f32 v6, -v9, v4, v1
	v_fmac_f32_e32 v4, v6, v12
	v_fma_f32 v1, -v9, v4, v1
	v_div_fmas_f32 v1, v1, v12, v4
	v_div_fixup_f32 v6, v1, v0, s25
	v_mul_f32_e32 v8, 0x3dbbe852, v5
	v_fmamk_f32 v5, v5, 0xbdbbe852, v5
                                        ; implicit-def: $vgpr0
.LBB0_102:
	s_andn2_saveexec_b64 s[20:21], s[20:21]
	s_cbranch_execz .LBB0_104
; %bb.103:
	v_mul_f32_e32 v1, 0xbfb8aa3b, v0
	s_mov_b32 s22, 0xbfb8aa3b
	v_rndne_f32_e32 v4, v1
	v_sub_f32_e32 v6, v1, v4
	v_fma_f32 v1, v0, s22, -v1
	v_fmamk_f32 v1, v0, 0xb2a5705f, v1
	v_add_f32_e32 v1, v6, v1
	v_exp_f32_e32 v1, v1
	v_cvt_i32_f32_e32 v4, v4
	s_mov_b32 s22, 0x42ce8ed0
	v_cmp_nlt_f32_e32 vcc, s22, v0
	s_mov_b32 s24, 0xbe8cee3d
	v_ldexp_f32 v1, v1, v4
	v_cndmask_b32_e32 v1, 0, v1, vcc
	s_mov_b32 s22, 0xc2b17218
	s_mov_b32 s25, 0xc02e6238
	v_mov_b32_e32 v4, 0x7f800000
	v_cmp_ngt_f32_e32 vcc, s22, v0
	v_pk_add_f32 v[6:7], v[0:1], s[24:25] op_sel_hi:[0,1]
	s_mov_b32 s26, 0x402e6238
	v_cndmask_b32_e32 v4, v4, v1, vcc
	v_div_scale_f32 v1, s[24:25], v7, v7, s26
	v_rcp_f32_e32 v12, v1
	s_mov_b32 s22, 0xbf6102b1
	s_mov_b32 s23, 0xc1149fe8
	v_mov_b32_e32 v8, 0x412eca38
	v_fma_f32 v13, -v1, v12, 1.0
	v_fmac_f32_e32 v12, v13, v12
	v_div_scale_f32 v13, vcc, s26, v7, s26
	v_mul_f32_e32 v16, v13, v12
	v_fma_f32 v17, -v1, v16, v13
	v_mov_b32_e32 v9, 0x42a220e4
	v_fmac_f32_e32 v16, v17, v12
	s_mov_b32 s24, 0x3e8cee3d
	v_pk_fma_f32 v[8:9], v[0:1], s[22:23], v[8:9] op_sel_hi:[0,1,1]
	v_fma_f32 v1, -v1, v16, v13
	v_div_scale_f32 v13, s[22:23], v6, v6, s24
	v_rcp_f32_e32 v17, v13
	v_div_fmas_f32 v1, v1, v12, v16
	v_div_fixup_f32 v7, v1, v7, s26
	v_fma_f32 v1, -v13, v17, 1.0
	v_fmac_f32_e32 v17, v1, v17
	v_div_scale_f32 v1, vcc, s24, v6, s24
	v_mul_f32_e32 v12, v1, v17
	v_fma_f32 v16, -v13, v12, v1
	v_fmac_f32_e32 v12, v16, v17
	v_fma_f32 v1, -v13, v12, v1
	v_div_fmas_f32 v1, v1, v17, v12
	v_div_fixup_f32 v6, v1, v6, s24
	v_mov_b32_e32 v1, 0xc29bd9a2
	v_pk_fma_f32 v[6:7], v[4:5], v[8:9], v[6:7] op_sel_hi:[0,1,1]
	v_fmac_f32_e32 v1, 0x408efe8f, v0
	v_mul_f32_e32 v8, 0x3dbbe852, v5
	v_fmac_f32_e32 v8, v4, v1
	v_sub_f32_e32 v5, v5, v8
.LBB0_104:
	s_or_b64 exec, exec, s[20:21]
	v_mov_b32_e32 v9, 0
	v_mov_b32_e32 v16, 0
.LBB0_105:
	s_or_b64 exec, exec, s[18:19]
                                        ; implicit-def: $vgpr0
.LBB0_106:
	s_andn2_saveexec_b64 s[0:1], s[0:1]
	s_cbranch_execz .LBB0_110
; %bb.107:
	v_mov_b32_e32 v8, 0
	v_mov_b32_e32 v9, v8
	v_cmp_eq_u32_e32 vcc, 0, v32
	v_mov_b64_e32 v[6:7], v[8:9]
	s_and_saveexec_b64 s[18:19], vcc
	s_cbranch_execz .LBB0_109
; %bb.108:
	v_add_f32_e32 v0, -0.5, v0
	v_div_scale_f32 v1, s[20:21], v0, v0, 0.5
	v_rcp_f32_e32 v4, v1
	v_div_scale_f32 v6, vcc, 0.5, v0, 0.5
	v_fma_f32 v7, -v1, v4, 1.0
	v_fmac_f32_e32 v4, v7, v4
	v_mul_f32_e32 v7, v6, v4
	v_fma_f32 v9, -v1, v7, v6
	v_fmac_f32_e32 v7, v9, v4
	v_fma_f32 v1, -v1, v7, v6
	v_div_fmas_f32 v1, v1, v4, v7
	v_div_fixup_f32 v6, v1, v0, 0.5
	v_mov_b32_e32 v7, 0
.LBB0_109:
	s_or_b64 exec, exec, s[18:19]
	v_mov_b32_e32 v9, 0
	v_mov_b32_e32 v16, 0
.LBB0_110:
	s_or_b64 exec, exec, s[0:1]
                                        ; implicit-def: $vgpr0
.LBB0_111:
	s_andn2_saveexec_b64 s[16:17], s[16:17]
	s_cbranch_execz .LBB0_129
; %bb.112:
	v_mul_f32_e32 v1, 0xbfb8aa3b, v0
	s_mov_b32 s0, 0xbfb8aa3b
	v_rndne_f32_e32 v4, v1
	v_sub_f32_e32 v5, v1, v4
	v_fma_f32 v1, v0, s0, -v1
	v_fmamk_f32 v1, v0, 0xb2a5705f, v1
	s_mov_b32 s18, 0x3e48f136
	v_add_f32_e32 v1, v5, v1
	v_div_scale_f32 v5, s[0:1], v0, v0, s18
	v_exp_f32_e32 v1, v1
	v_cvt_i32_f32_e32 v4, v4
	v_rcp_f32_e32 v6, v5
	s_mov_b32 s19, 0x42ce8ed0
                                        ; implicit-def: $vgpr16
	v_ldexp_f32 v1, v1, v4
	v_fma_f32 v4, -v5, v6, 1.0
	v_fmac_f32_e32 v6, v4, v6
	v_div_scale_f32 v4, vcc, s18, v0, s18
	v_mul_f32_e32 v7, v4, v6
	v_fma_f32 v8, -v5, v7, v4
	v_fmac_f32_e32 v7, v8, v6
	v_fma_f32 v4, -v5, v7, v4
	v_div_fmas_f32 v4, v4, v6, v7
	v_div_fixup_f32 v4, v4, v0, s18
	v_add_f32_e32 v4, 0xbefe708c, v4
	v_div_scale_f32 v5, s[0:1], v0, v0, v4
	v_rcp_f32_e32 v6, v5
	v_cmp_nlt_f32_e32 vcc, s19, v0
	s_mov_b32 s19, 0x3f490fdb
	s_mov_b32 s18, 0xc2b17218
	v_fma_f32 v8, -v5, v6, 1.0
	v_cndmask_b32_e32 v1, 0, v1, vcc
	v_fmac_f32_e32 v6, v8, v6
	v_div_scale_f32 v8, vcc, v4, v0, v4
	v_mul_f32_e32 v9, v8, v6
	v_fma_f32 v12, -v5, v9, v8
	v_fmac_f32_e32 v9, v12, v6
	v_div_scale_f32 v12, s[0:1], v0, v0, s19
	v_rcp_f32_e32 v13, v12
	v_fma_f32 v5, -v5, v9, v8
	v_div_fmas_f32 v5, v5, v6, v9
	s_mov_b32 s0, 0xf800000
	v_fma_f32 v6, -v12, v13, 1.0
	v_fmac_f32_e32 v13, v6, v13
	v_div_scale_f32 v6, vcc, s19, v0, s19
	v_mul_f32_e32 v8, v6, v13
	v_fma_f32 v9, -v12, v8, v6
	v_fmac_f32_e32 v8, v9, v13
	v_fma_f32 v6, -v12, v8, v6
	v_div_fmas_f32 v6, v6, v13, v8
	v_div_fixup_f32 v6, v6, v0, s19
	v_mul_f32_e32 v8, 0x4f800000, v6
	v_cmp_gt_f32_e32 vcc, s0, v6
	v_mov_b32_e32 v7, 0x7f800000
	v_cmp_ngt_f32_e64 s[0:1], s18, v0
	v_cndmask_b32_e32 v6, v6, v8, vcc
	v_sqrt_f32_e32 v8, v6
	v_cndmask_b32_e64 v12, v7, v1, s[0:1]
	v_div_fixup_f32 v1, v5, v0, v4
	v_add_f32_e32 v1, 0xb87c50a3, v1
	v_add_u32_e32 v4, -1, v8
	v_fma_f32 v5, -v4, v8, v6
	v_cmp_ge_f32_e64 s[0:1], 0, v5
	v_add_u32_e32 v5, 1, v8
	v_fma_f32 v7, -v5, v8, v6
	v_cndmask_b32_e64 v4, v8, v4, s[0:1]
	v_cmp_lt_f32_e64 s[0:1], 0, v7
	s_nop 1
	v_cndmask_b32_e64 v4, v4, v5, s[0:1]
	v_mul_f32_e32 v5, 0x37800000, v4
	v_cndmask_b32_e32 v4, v4, v5, vcc
	v_mov_b32_e32 v5, 0x260
	v_cmp_class_f32_e32 vcc, v6, v5
	s_nop 1
	v_cndmask_b32_e32 v5, v4, v6, vcc
	v_fmac_f32_e32 v5, v12, v1
	v_add_f32_e32 v1, v0, v0
	v_sub_f32_e32 v4, v5, v12
	v_div_scale_f32 v6, s[0:1], v1, v1, v4
	v_rcp_f32_e32 v7, v6
	s_nop 0
	v_fma_f32 v8, -v6, v7, 1.0
	v_fmac_f32_e32 v7, v8, v7
	v_div_scale_f32 v8, vcc, v4, v1, v4
	v_mul_f32_e32 v9, v8, v7
	v_fma_f32 v13, -v6, v9, v8
	v_fmac_f32_e32 v9, v13, v7
	v_fma_f32 v6, -v6, v9, v8
	v_div_fmas_f32 v6, v6, v7, v9
	v_div_fixup_f32 v4, v6, v1, v4
	v_cmp_lt_i32_e32 vcc, 0, v32
                                        ; implicit-def: $vgpr8
                                        ; implicit-def: $vgpr6_vgpr7
	s_and_saveexec_b64 s[0:1], vcc
	s_xor_b64 s[0:1], exec, s[0:1]
	s_cbranch_execz .LBB0_124
; %bb.113:
	v_cmp_lt_i32_e32 vcc, 1, v32
                                        ; implicit-def: $vgpr8
                                        ; implicit-def: $vgpr6_vgpr7
                                        ; implicit-def: $vgpr16
	s_and_saveexec_b64 s[18:19], vcc
	s_xor_b64 s[18:19], exec, s[18:19]
	s_cbranch_execz .LBB0_121
; %bb.114:
	v_mov_b32_e32 v8, 0
	v_mov_b32_e32 v9, v8
	v_cmp_eq_u32_e32 vcc, 2, v32
	v_mov_b64_e32 v[6:7], v[8:9]
	v_mov_b32_e32 v16, v8
	s_and_saveexec_b64 s[20:21], vcc
	s_cbranch_execz .LBB0_120
; %bb.115:
	s_mov_b32 s22, 0x41a00000
	v_cmp_ngt_f32_e32 vcc, s22, v0
                                        ; implicit-def: $vgpr6_vgpr7
                                        ; implicit-def: $vgpr8
	s_and_saveexec_b64 s[22:23], vcc
	s_xor_b64 s[22:23], exec, s[22:23]
	s_cbranch_execz .LBB0_117
; %bb.116:
	s_mov_b32 s28, 0xc5c528bb
	v_div_scale_f32 v6, s[24:25], v0, v0, s28
	v_rcp_f32_e32 v7, v6
	s_mov_b32 s29, 0xc4251610
	s_mov_b32 s24, 0xba026eca
	;; [unrolled: 1-line block ×3, first 2 shown]
	v_fma_f32 v8, -v6, v7, 1.0
	v_fmac_f32_e32 v7, v8, v7
	v_div_scale_f32 v8, vcc, s28, v0, s28
	v_mul_f32_e32 v9, v8, v7
	v_fma_f32 v13, -v6, v9, v8
	v_fmac_f32_e32 v9, v13, v7
	v_fma_f32 v6, -v6, v9, v8
	v_div_scale_f32 v8, s[26:27], v0, v0, s29
	v_rcp_f32_e32 v13, v8
	v_div_fmas_f32 v6, v6, v7, v9
	v_div_fixup_f32 v7, v6, v0, s28
	v_mov_b32_e32 v17, 0xbf047292
	v_fma_f32 v6, -v8, v13, 1.0
	v_fmac_f32_e32 v13, v6, v13
	v_div_scale_f32 v6, vcc, s29, v0, s29
	v_mul_f32_e32 v9, v6, v13
	v_fma_f32 v16, -v8, v9, v6
	v_fmac_f32_e32 v9, v16, v13
	v_mov_b32_e32 v16, 0xbd4d2e47
	v_pk_fma_f32 v[16:17], v[0:1], s[24:25], v[16:17] op_sel_hi:[0,1,1]
	s_mov_b32 s24, 0x3fa7ce91
	s_mov_b32 s26, 0xbe42ba39
	;; [unrolled: 1-line block ×3, first 2 shown]
	v_fma_f32 v6, -v8, v9, v6
	s_mov_b32 s27, 0xbfe46a42
	v_pk_fma_f32 v[16:17], v[0:1], v[16:17], s[24:25] op_sel_hi:[0,1,1]
	s_mov_b32 s24, 0xc196ab4c
	v_div_fmas_f32 v6, v6, v13, v9
	v_pk_add_f32 v[8:9], v[0:1], s[26:27] op_sel_hi:[0,1]
	s_mov_b32 s25, 0xc3256d28
	s_mov_b32 s26, 0x3fe46a42
	v_div_fixup_f32 v6, v6, v0, s29
	v_pk_fma_f32 v[16:17], v[0:1], v[16:17], s[24:25] op_sel_hi:[0,1,1]
	v_div_scale_f32 v13, s[24:25], v9, v9, s26
	v_pk_fma_f32 v[6:7], v[0:1], v[16:17], v[6:7] op_sel_hi:[0,1,1]
	v_rcp_f32_e32 v16, v13
	s_mov_b32 s24, 0x4324ee74
	s_mov_b32 s25, 0x44be4a2a
	;; [unrolled: 1-line block ×3, first 2 shown]
	v_fma_f32 v17, -v13, v16, 1.0
	v_fmac_f32_e32 v16, v17, v16
	v_div_scale_f32 v17, vcc, s26, v9, s26
	v_mul_f32_e32 v20, v17, v16
	v_fma_f32 v21, -v13, v20, v17
	v_fmac_f32_e32 v20, v21, v16
	v_pk_add_f32 v[6:7], v[6:7], s[24:25]
	v_fma_f32 v13, -v13, v20, v17
	v_div_scale_f32 v17, s[24:25], v8, v8, s27
	v_rcp_f32_e32 v21, v17
	v_div_fmas_f32 v13, v13, v16, v20
	v_div_fixup_f32 v9, v13, v9, s26
	s_mov_b32 s26, 0xc663b5e1
	v_fma_f32 v13, -v17, v21, 1.0
	v_fmac_f32_e32 v21, v13, v21
	v_div_scale_f32 v13, vcc, s27, v8, s27
	v_mul_f32_e32 v16, v13, v21
	v_fma_f32 v20, -v17, v16, v13
	v_fmac_f32_e32 v16, v20, v21
	v_fma_f32 v13, -v17, v16, v13
	v_div_fmas_f32 v13, v13, v21, v16
	v_div_fixup_f32 v8, v13, v8, s27
	v_pk_fma_f32 v[6:7], v[12:13], v[6:7], v[8:9] op_sel_hi:[0,1,1]
	v_div_scale_f32 v9, s[24:25], v0, v0, s26
	v_rcp_f32_e32 v13, v9
	v_mov_b32_e32 v8, 0xbfe2ef83
	v_fmac_f32_e32 v8, 0xbc62b400, v0
	v_fmaak_f32 v8, v0, v8, 0x418ae947
	v_fma_f32 v16, -v9, v13, 1.0
	v_fmac_f32_e32 v13, v16, v13
	v_div_scale_f32 v16, vcc, s26, v0, s26
	v_mul_f32_e32 v17, v16, v13
	v_fma_f32 v20, -v9, v17, v16
	v_fmac_f32_e32 v17, v20, v13
	v_fma_f32 v9, -v9, v17, v16
	v_div_fmas_f32 v9, v9, v13, v17
	v_fmaak_f32 v8, v0, v8, 0xc3b2cebc
	v_div_fixup_f32 v9, v9, v0, s26
	v_fmac_f32_e32 v9, v0, v8
	v_add_f32_e32 v8, 0x4528a517, v9
.LBB0_117:
	s_andn2_saveexec_b64 s[22:23], s[22:23]
	s_cbranch_execz .LBB0_119
; %bb.118:
	s_mov_b32 s24, 0xbe42ba39
	v_mov_b32_e32 v8, 0x39bba4b6
	s_mov_b32 s25, 0xbfe46a42
	v_fmac_f32_e32 v8, 0xb62341a3, v0
	v_pk_add_f32 v[6:7], v[0:1], s[24:25] op_sel_hi:[0,1]
	v_mov_b32_e32 v9, 0x3989b133
	s_mov_b32 s24, 0xbcbfc8ef
	s_mov_b32 s26, 0xca32054d
	v_pk_fma_f32 v[16:17], v[0:1], v[8:9], s[24:25]
	v_div_scale_f32 v13, s[24:25], v0, v0, s26
	v_rcp_f32_e32 v20, v13
	s_mov_b32 s25, 0x3d0f0702
	v_pk_fma_f32 v[8:9], v[0:1], v[8:9], s[24:25] op_sel_hi:[0,1,1] neg_lo:[1,0,0] neg_hi:[1,0,0]
	v_mov_b32_e32 v17, v9
	v_fma_f32 v8, -v13, v20, 1.0
	v_fmac_f32_e32 v20, v8, v20
	v_div_scale_f32 v8, vcc, s26, v0, s26
	v_mul_f32_e32 v9, v8, v20
	v_fma_f32 v21, -v13, v9, v8
	v_fmac_f32_e32 v9, v21, v20
	v_fma_f32 v8, -v13, v9, v8
	v_div_fmas_f32 v8, v8, v20, v9
	v_div_fixup_f32 v8, v8, v0, s26
	s_mov_b32 s24, 0x3f480b7a
	v_add_f32_e32 v13, 0x49ac46f8, v8
	s_mov_b32 s25, 0xc045f9e0
	v_pk_fma_f32 v[8:9], v[0:1], v[16:17], s[24:25] op_sel_hi:[0,1,1]
	v_div_scale_f32 v16, s[26:27], v0, v0, v13
	v_rcp_f32_e32 v17, v16
	s_mov_b32 s28, 0x469a624f
	s_mov_b32 s24, 0xc18a913f
	;; [unrolled: 1-line block ×3, first 2 shown]
	v_fma_f32 v20, -v16, v17, 1.0
	v_fmac_f32_e32 v17, v20, v17
	v_div_scale_f32 v20, vcc, v13, v0, v13
	v_mul_f32_e32 v21, v20, v17
	v_fma_f32 v22, -v16, v21, v20
	v_fmac_f32_e32 v21, v22, v17
	v_fma_f32 v16, -v16, v21, v20
	v_div_scale_f32 v20, s[26:27], v0, v0, s28
	v_rcp_f32_e32 v22, v20
	v_div_fmas_f32 v16, v16, v17, v21
	v_div_fixup_f32 v17, v16, v0, v13
	s_mov_b32 s27, 0xc88e598b
	v_fma_f32 v13, -v20, v22, 1.0
	v_fmac_f32_e32 v22, v13, v22
	v_div_scale_f32 v13, vcc, s28, v0, s28
	v_mul_f32_e32 v16, v13, v22
	v_fma_f32 v21, -v20, v16, v13
	v_fmac_f32_e32 v16, v21, v22
	v_fma_f32 v13, -v20, v16, v13
	v_div_fmas_f32 v13, v13, v22, v16
	v_div_fixup_f32 v16, v13, v0, s28
	v_pk_add_f32 v[20:21], v[16:17], s[26:27]
	v_pk_fma_f32 v[8:9], v[0:1], v[8:9], s[24:25] op_sel_hi:[0,1,1]
	v_div_scale_f32 v13, s[26:27], v0, v0, v21
	s_mov_b32 s24, 0x43738477
	v_rcp_f32_e32 v20, v13
	s_mov_b32 s25, 0xc513e98b
	v_pk_fma_f32 v[8:9], v[0:1], v[8:9], s[24:25] op_sel_hi:[0,1,1]
	s_mov_b32 s24, 0x461981a8
	v_pk_add_f32 v[16:17], v[16:17], s[24:25] neg_lo:[1,0] neg_hi:[1,0]
	s_mov_b32 s26, 0x3fe46a42
	v_fma_f32 v17, -v13, v20, 1.0
	v_fmac_f32_e32 v20, v17, v20
	v_div_scale_f32 v17, vcc, v21, v0, v21
	v_mul_f32_e32 v22, v17, v20
	v_fma_f32 v23, -v13, v22, v17
	v_fmac_f32_e32 v22, v23, v20
	v_div_scale_f32 v23, s[24:25], v0, v0, v16
	v_rcp_f32_e32 v97, v23
	v_fma_f32 v13, -v13, v22, v17
	v_div_fmas_f32 v13, v13, v20, v22
	v_div_fixup_f32 v17, v13, v0, v21
	v_fma_f32 v13, -v23, v97, 1.0
	v_fmac_f32_e32 v97, v13, v97
	v_div_scale_f32 v13, vcc, v16, v0, v16
	v_mul_f32_e32 v20, v13, v97
	v_fma_f32 v21, -v23, v20, v13
	v_fmac_f32_e32 v20, v21, v97
	v_fma_f32 v13, -v23, v20, v13
	v_div_fmas_f32 v13, v13, v97, v20
	v_div_fixup_f32 v16, v13, v0, v16
	v_div_scale_f32 v13, s[24:25], v7, v7, s26
	v_pk_fma_f32 v[8:9], v[0:1], v[8:9], v[16:17] op_sel_hi:[0,1,1]
	v_rcp_f32_e32 v16, v13
	s_mov_b32 s24, 0xc501fb4f
	s_mov_b32 s25, 0x4702f04a
	;; [unrolled: 1-line block ×3, first 2 shown]
	v_fma_f32 v17, -v13, v16, 1.0
	v_fmac_f32_e32 v16, v17, v16
	v_div_scale_f32 v17, vcc, s26, v7, s26
	v_mul_f32_e32 v20, v17, v16
	v_fma_f32 v21, -v13, v20, v17
	v_fmac_f32_e32 v20, v21, v16
	v_pk_add_f32 v[8:9], v[8:9], s[24:25]
	v_fma_f32 v13, -v13, v20, v17
	v_div_scale_f32 v17, s[24:25], v6, v6, s27
	v_rcp_f32_e32 v21, v17
	v_div_fmas_f32 v13, v13, v16, v20
	v_div_fixup_f32 v7, v13, v7, s26
	s_mov_b32 s26, 0xc8396161
	v_fma_f32 v13, -v17, v21, 1.0
	v_fmac_f32_e32 v21, v13, v21
	v_div_scale_f32 v13, vcc, s27, v6, s27
	v_mul_f32_e32 v16, v13, v21
	v_fma_f32 v20, -v17, v16, v13
	v_fmac_f32_e32 v16, v20, v21
	v_fma_f32 v13, -v17, v16, v13
	v_div_fmas_f32 v13, v13, v21, v16
	v_div_fixup_f32 v6, v13, v6, s27
	v_div_scale_f32 v13, s[24:25], v0, v0, s26
	v_rcp_f32_e32 v16, v13
	v_pk_fma_f32 v[6:7], v[12:13], v[8:9], v[6:7] op_sel_hi:[0,1,1]
	v_mov_b32_e32 v8, 0xbceb226e
	v_fmac_f32_e32 v8, 0x38c36ca9, v0
	v_fma_f32 v9, -v13, v16, 1.0
	v_fmac_f32_e32 v16, v9, v16
	v_div_scale_f32 v9, vcc, s26, v0, s26
	v_mul_f32_e32 v17, v9, v16
	v_fma_f32 v20, -v13, v17, v9
	v_fmac_f32_e32 v17, v20, v16
	v_fma_f32 v9, -v13, v17, v9
	v_div_fmas_f32 v9, v9, v16, v17
	v_div_fixup_f32 v9, v9, v0, s26
	v_add_f32_e32 v9, 0x4747cdd7, v9
	v_div_scale_f32 v13, s[24:25], v0, v0, v9
	v_rcp_f32_e32 v16, v13
	v_fmaak_f32 v8, v0, v8, 0xbf4893b3
	v_fmaak_f32 v8, v0, v8, 0xc193789b
	;; [unrolled: 1-line block ×3, first 2 shown]
	v_fma_f32 v17, -v13, v16, 1.0
	v_fmac_f32_e32 v16, v17, v16
	v_div_scale_f32 v17, vcc, v9, v0, v9
	v_mul_f32_e32 v20, v17, v16
	v_fma_f32 v21, -v13, v20, v17
	v_fmac_f32_e32 v20, v21, v16
	v_fma_f32 v13, -v13, v20, v17
	v_div_fmas_f32 v13, v13, v16, v20
	v_div_fixup_f32 v9, v13, v0, v9
	v_fmac_f32_e32 v9, v0, v8
	v_add_f32_e32 v8, 0xc5d70baa, v9
.LBB0_119:
	s_or_b64 exec, exec, s[22:23]
	v_fma_f32 v9, 2.0, v4, v4
	v_sub_f32_e32 v9, v9, v12
	v_div_scale_f32 v13, s[22:23], v1, v1, v9
	v_rcp_f32_e32 v16, v13
	v_div_scale_f32 v17, vcc, v9, v1, v9
	v_add_f32_e32 v0, 0xc0b0cf9e, v0
	v_fma_f32 v20, -v13, v16, 1.0
	v_fmac_f32_e32 v16, v20, v16
	v_mul_f32_e32 v20, v17, v16
	v_fma_f32 v21, -v13, v20, v17
	s_mov_b32 s24, 0x40b0cf9e
	v_fmac_f32_e32 v20, v21, v16
	v_div_scale_f32 v21, s[22:23], v0, v0, s24
	v_rcp_f32_e32 v22, v21
	v_fma_f32 v13, -v13, v20, v17
	v_div_fmas_f32 v13, v13, v16, v20
	v_fma_f32 v16, -v21, v22, 1.0
	v_fmac_f32_e32 v22, v16, v22
	v_div_scale_f32 v16, vcc, s24, v0, s24
	v_mul_f32_e32 v17, v16, v22
	v_fma_f32 v20, -v21, v17, v16
	v_fmac_f32_e32 v17, v20, v22
	v_fma_f32 v16, -v21, v17, v16
	v_div_fmas_f32 v16, v16, v22, v17
	v_div_fixup_f32 v16, v16, v0, s24
	v_fmac_f32_e32 v16, v12, v8
	v_add_f32_e32 v12, 1.0, v16
	v_div_scale_f32 v8, s[22:23], v12, v12, v16
	v_rcp_f32_e32 v17, v8
	v_div_fixup_f32 v0, v13, v1, v9
	v_fma_f32 v1, -v8, v17, 1.0
	v_fmac_f32_e32 v17, v1, v17
	v_div_scale_f32 v1, vcc, v16, v12, v16
	v_mul_f32_e32 v13, v1, v17
	v_fma_f32 v9, -v8, v13, v1
	v_fmac_f32_e32 v13, v9, v17
	v_fma_f32 v1, -v8, v13, v1
	v_pk_add_f32 v[8:9], v[6:7], 1.0 op_sel_hi:[1,0]
	v_div_fmas_f32 v1, v1, v17, v13
	v_div_scale_f32 v20, s[22:23], v9, v9, v7
	v_rcp_f32_e32 v21, v20
	v_div_fixup_f32 v12, v1, v12, v16
	v_mov_b32_e32 v1, v4
	v_fma_f32 v13, -v20, v21, 1.0
	v_fmac_f32_e32 v21, v13, v21
	v_div_scale_f32 v13, vcc, v7, v9, v7
	v_mul_f32_e32 v17, v13, v21
	v_fma_f32 v22, -v20, v17, v13
	v_fmac_f32_e32 v17, v22, v21
	v_fma_f32 v13, -v20, v17, v13
	v_div_scale_f32 v20, s[22:23], v8, v8, v6
	v_rcp_f32_e32 v22, v20
	v_div_fmas_f32 v13, v13, v21, v17
	v_div_fixup_f32 v9, v13, v9, v7
	v_fma_f32 v13, -v20, v22, 1.0
	v_fmac_f32_e32 v22, v13, v22
	v_div_scale_f32 v13, vcc, v6, v8, v6
	v_mul_f32_e32 v17, v13, v22
	v_fma_f32 v21, -v20, v17, v13
	v_fmac_f32_e32 v17, v21, v22
	v_fma_f32 v13, -v20, v17, v13
	v_div_fmas_f32 v13, v13, v22, v17
	v_div_fixup_f32 v8, v13, v8, v6
	v_pk_fma_f32 v[0:1], v[4:5], v[8:9], v[0:1] op_sel_hi:[1,0,1] neg_lo:[1,0,0] neg_hi:[1,0,0]
	v_pk_add_f32 v[22:23], v[12:13], v[8:9] op_sel_hi:[0,1] neg_lo:[0,1] neg_hi:[0,1]
	v_mov_b32_e32 v13, v8
	v_pk_mul_f32 v[20:21], v[8:9], v[0:1]
	v_pk_add_f32 v[8:9], v[8:9], v[12:13] neg_lo:[0,1] neg_hi:[0,1]
	v_pk_mul_f32 v[98:99], v[22:23], v[22:23] op_sel_hi:[1,0]
	v_mov_b32_e32 v13, v9
	v_mov_b32_e32 v22, v1
	v_pk_mul_f32 v[8:9], v[12:13], v[22:23]
	v_mov_b32_e32 v13, v0
	v_mov_b32_e32 v12, v8
	v_mov_b32_e32 v1, v21
	v_pk_add_f32 v[0:1], v[12:13], v[0:1] neg_lo:[0,1] neg_hi:[0,1]
	s_nop 0
	v_div_scale_f32 v4, s[22:23], v9, v9, v0
	v_rcp_f32_e32 v8, v4
	s_nop 0
	v_fma_f32 v12, -v4, v8, 1.0
	v_fmac_f32_e32 v8, v12, v8
	v_div_scale_f32 v12, vcc, v0, v9, v0
	v_mul_f32_e32 v13, v12, v8
	v_fma_f32 v17, -v4, v13, v12
	v_fmac_f32_e32 v13, v17, v8
	v_fma_f32 v4, -v4, v13, v12
	v_div_scale_f32 v12, s[22:23], v99, v99, v1
	v_rcp_f32_e32 v17, v12
	v_div_fmas_f32 v4, v4, v8, v13
	v_div_fixup_f32 v8, v4, v9, v0
	v_fma_f32 v0, -v12, v17, 1.0
	v_fmac_f32_e32 v17, v0, v17
	v_div_scale_f32 v0, vcc, v1, v99, v1
	v_mul_f32_e32 v4, v0, v17
	v_fma_f32 v9, -v12, v4, v0
	v_fmac_f32_e32 v4, v9, v17
	v_fma_f32 v0, -v12, v4, v0
	v_div_fmas_f32 v0, v0, v17, v4
	v_div_fixup_f32 v9, v0, v99, v1
	v_sub_f32_e32 v0, v5, v8
	v_sub_f32_e32 v5, v0, v9
.LBB0_120:
	s_or_b64 exec, exec, s[20:21]
                                        ; implicit-def: $vgpr0
                                        ; implicit-def: $vgpr12
.LBB0_121:
	s_andn2_saveexec_b64 s[18:19], s[18:19]
	s_cbranch_execz .LBB0_123
; %bb.122:
	s_mov_b32 s22, 0xc307d4bd
	v_div_scale_f32 v1, s[20:21], v0, v0, s22
	v_rcp_f32_e32 v7, v1
	s_mov_b32 s23, 0xc23e4bfd
	v_mov_b32_e32 v6, 0x39388d8e
	v_fmac_f32_e32 v6, 0xb59a3989, v0
	v_fma_f32 v8, -v1, v7, 1.0
	v_fmac_f32_e32 v7, v8, v7
	v_div_scale_f32 v8, vcc, s22, v0, s22
	v_mul_f32_e32 v9, v8, v7
	v_fma_f32 v13, -v1, v9, v8
	v_fmac_f32_e32 v9, v13, v7
	v_fma_f32 v1, -v1, v9, v8
	v_div_scale_f32 v8, s[20:21], v0, v0, s23
	v_rcp_f32_e32 v13, v8
	v_div_fmas_f32 v1, v1, v7, v9
	v_div_fixup_f32 v9, v1, v0, s22
	s_mov_b32 s20, 0xbe8cee3d
	v_fma_f32 v1, -v8, v13, 1.0
	v_fmac_f32_e32 v13, v1, v13
	v_div_scale_f32 v1, vcc, s23, v0, s23
	v_mul_f32_e32 v7, v1, v13
	v_fma_f32 v16, -v8, v7, v1
	v_fmac_f32_e32 v7, v16, v13
	v_fma_f32 v1, -v8, v7, v1
	v_div_fmas_f32 v1, v1, v13, v7
	s_mov_b32 s21, 0xc02e6238
	v_pk_add_f32 v[16:17], v[0:1], s[20:21] op_sel_hi:[0,1]
	s_mov_b32 s20, 0xbc8ce3aa
	v_mov_b32_e32 v7, 0x39bf52f4
	s_mov_b32 s21, 0xbdc708fb
	v_pk_fma_f32 v[6:7], v[0:1], v[6:7], s[20:21] op_sel_hi:[0,1,1]
	s_mov_b32 s20, 0x41135c5f
	v_div_fixup_f32 v8, v1, v0, s23
	s_mov_b32 s21, 0xc2ad60db
	v_pk_add_f32 v[8:9], v[8:9], s[20:21]
	s_mov_b32 s22, 0x402e6238
	v_div_scale_f32 v1, s[20:21], v0, v0, v9
	v_rcp_f32_e32 v13, v1
	s_mov_b32 s20, 0xbe0c9671
	s_mov_b32 s21, 0xc080ec6f
	v_pk_fma_f32 v[6:7], v[0:1], v[6:7], s[20:21] op_sel_hi:[0,1,1]
	v_fma_f32 v20, -v1, v13, 1.0
	v_fmac_f32_e32 v13, v20, v13
	v_div_scale_f32 v20, vcc, v9, v0, v9
	v_mul_f32_e32 v21, v20, v13
	v_fma_f32 v22, -v1, v21, v20
	v_fmac_f32_e32 v21, v22, v13
	v_fma_f32 v1, -v1, v21, v20
	v_div_scale_f32 v20, s[20:21], v0, v0, v8
	v_rcp_f32_e32 v22, v20
	v_div_fmas_f32 v1, v1, v13, v21
	v_div_fixup_f32 v9, v1, v0, v9
	s_mov_b32 s23, 0x3e8cee3d
	v_fma_f32 v1, -v20, v22, 1.0
	v_fmac_f32_e32 v22, v1, v22
	v_div_scale_f32 v1, vcc, v8, v0, v8
	v_mul_f32_e32 v13, v1, v22
	v_fma_f32 v21, -v20, v13, v1
	v_fmac_f32_e32 v13, v21, v22
	v_fma_f32 v1, -v20, v13, v1
	v_div_fmas_f32 v1, v1, v22, v13
	v_div_fixup_f32 v8, v1, v0, v8
	v_pk_fma_f32 v[0:1], v[0:1], v[6:7], v[8:9] op_sel_hi:[0,1,1]
	v_div_scale_f32 v6, s[20:21], v17, v17, s22
	v_rcp_f32_e32 v7, v6
	s_mov_b32 s20, 0xbcbd4d2c
	s_mov_b32 s21, 0x403eba2b
	v_pk_add_f32 v[0:1], v[0:1], s[20:21]
	v_fma_f32 v8, -v6, v7, 1.0
	v_fmac_f32_e32 v7, v8, v7
	v_div_scale_f32 v8, vcc, s22, v17, s22
	v_mul_f32_e32 v9, v8, v7
	v_fma_f32 v13, -v6, v9, v8
	v_fmac_f32_e32 v9, v13, v7
	v_fma_f32 v6, -v6, v9, v8
	v_div_scale_f32 v8, s[20:21], v16, v16, s23
	v_rcp_f32_e32 v13, v8
	v_div_fmas_f32 v6, v6, v7, v9
	v_div_fixup_f32 v7, v6, v17, s22
	v_fma_f32 v6, -v8, v13, 1.0
	v_fmac_f32_e32 v13, v6, v13
	v_div_scale_f32 v6, vcc, s23, v16, s23
	v_mul_f32_e32 v9, v6, v13
	v_fma_f32 v17, -v8, v9, v6
	v_fmac_f32_e32 v9, v17, v13
	v_fma_f32 v6, -v8, v9, v6
	v_div_fmas_f32 v6, v6, v13, v9
	v_div_fixup_f32 v6, v6, v16, s23
	v_pk_fma_f32 v[6:7], v[12:13], v[0:1], v[6:7] op_sel_hi:[0,1,1]
	v_sub_f32_e32 v0, v4, v5
	v_fmac_f32_e32 v4, v0, v6
	v_add_f32_e32 v0, 1.0, v7
	v_mul_f32_e32 v0, v0, v4
	v_sub_f32_e32 v1, v7, v6
	v_div_scale_f32 v4, s[20:21], v1, v1, v0
	v_rcp_f32_e32 v8, v4
	v_mov_b32_e32 v16, 0
	v_fma_f32 v9, -v4, v8, 1.0
	v_fmac_f32_e32 v8, v9, v8
	v_div_scale_f32 v9, vcc, v0, v1, v0
	v_mul_f32_e32 v12, v9, v8
	v_fma_f32 v13, -v4, v12, v9
	v_fmac_f32_e32 v12, v13, v8
	v_fma_f32 v4, -v4, v12, v9
	v_div_fmas_f32 v4, v4, v8, v12
	v_div_fixup_f32 v8, v4, v1, v0
	v_sub_f32_e32 v5, v5, v8
	v_mov_b32_e32 v9, 0
.LBB0_123:
	s_or_b64 exec, exec, s[18:19]
.LBB0_124:
	s_andn2_saveexec_b64 s[0:1], s[0:1]
	s_cbranch_execz .LBB0_128
; %bb.125:
	v_mov_b32_e32 v8, 0
	v_mov_b32_e32 v9, v8
	v_cmp_eq_u32_e32 vcc, 0, v32
	v_mov_b64_e32 v[6:7], v[8:9]
	s_and_saveexec_b64 s[18:19], vcc
	s_cbranch_execz .LBB0_127
; %bb.126:
	v_sub_f32_e32 v0, v5, v4
	v_div_scale_f32 v1, s[20:21], v0, v0, v4
	v_rcp_f32_e32 v6, v1
	v_div_scale_f32 v7, vcc, v4, v0, v4
	v_fma_f32 v9, -v1, v6, 1.0
	v_fmac_f32_e32 v6, v9, v6
	v_mul_f32_e32 v9, v7, v6
	v_fma_f32 v12, -v1, v9, v7
	v_fmac_f32_e32 v9, v12, v6
	v_fma_f32 v1, -v1, v9, v7
	v_div_fmas_f32 v1, v1, v6, v9
	v_div_fixup_f32 v6, v1, v0, v4
	v_mov_b32_e32 v7, 0
.LBB0_127:
	s_or_b64 exec, exec, s[18:19]
	v_mov_b32_e32 v9, 0
	v_mov_b32_e32 v16, 0
.LBB0_128:
	s_or_b64 exec, exec, s[0:1]
.LBB0_129:
	s_or_b64 exec, exec, s[16:17]
                                        ; implicit-def: $vgpr0
.LBB0_130:
	s_andn2_saveexec_b64 s[14:15], s[14:15]
	s_cbranch_execz .LBB0_144
; %bb.131:
	v_mul_f32_e32 v1, 0xbfb8aa3b, v0
	s_mov_b32 s0, 0xbfb8aa3b
	v_rndne_f32_e32 v4, v1
	s_mov_b32 s16, 0xbe405aee
	v_sub_f32_e32 v5, v1, v4
	v_fma_f32 v1, v0, s0, -v1
	v_div_scale_f32 v6, s[0:1], v0, v0, s16
	v_rcp_f32_e32 v7, v6
	v_fmamk_f32 v1, v0, 0xb2a5705f, v1
	v_add_f32_e32 v1, v5, v1
	v_exp_f32_e32 v1, v1
	v_fma_f32 v5, -v6, v7, 1.0
	v_fmac_f32_e32 v7, v5, v7
	v_div_scale_f32 v5, vcc, s16, v0, s16
	v_mul_f32_e32 v8, v5, v7
	v_fma_f32 v9, -v6, v8, v5
	v_fmac_f32_e32 v8, v9, v7
	v_fma_f32 v5, -v6, v8, v5
	v_div_fmas_f32 v5, v5, v7, v8
	v_div_fixup_f32 v5, v5, v0, s16
	v_add_f32_e32 v5, 0x3e6b6fc1, v5
	v_div_scale_f32 v6, s[0:1], v0, v0, v5
	v_cvt_i32_f32_e32 v4, v4
	v_rcp_f32_e32 v7, v6
	s_mov_b32 s16, 0x42ce8ed0
	s_mov_b32 s17, 0x3f490fdb
	v_ldexp_f32 v1, v1, v4
	v_fma_f32 v4, -v6, v7, 1.0
	v_fmac_f32_e32 v7, v4, v7
	v_div_scale_f32 v4, vcc, v5, v0, v5
	v_mul_f32_e32 v8, v4, v7
	v_fma_f32 v9, -v6, v8, v4
	v_fmac_f32_e32 v8, v9, v7
	v_fma_f32 v4, -v6, v8, v4
	v_div_fmas_f32 v4, v4, v7, v8
	v_div_fixup_f32 v4, v4, v0, v5
	v_add_f32_e32 v5, 0xbeff74bd, v4
	v_div_scale_f32 v4, s[0:1], v0, v0, v5
	v_rcp_f32_e32 v6, v4
	v_cmp_nlt_f32_e32 vcc, s16, v0
	s_mov_b32 s16, 0xc2b17218
	v_mov_b32_e32 v7, 0x7f800000
	v_fma_f32 v8, -v4, v6, 1.0
	v_cndmask_b32_e32 v1, 0, v1, vcc
	v_fmac_f32_e32 v6, v8, v6
	v_div_scale_f32 v8, vcc, v5, v0, v5
	v_mul_f32_e32 v9, v8, v6
	v_fma_f32 v12, -v4, v9, v8
	v_fmac_f32_e32 v9, v12, v6
	v_div_scale_f32 v12, s[0:1], v0, v0, s17
	v_rcp_f32_e32 v13, v12
	v_fma_f32 v4, -v4, v9, v8
	v_div_fmas_f32 v6, v4, v6, v9
	s_mov_b32 s0, 0xf800000
	v_fma_f32 v4, -v12, v13, 1.0
	v_fmac_f32_e32 v13, v4, v13
	v_div_scale_f32 v4, vcc, s17, v0, s17
	v_mul_f32_e32 v8, v4, v13
	v_fma_f32 v9, -v12, v8, v4
	v_fmac_f32_e32 v8, v9, v13
	v_fma_f32 v4, -v12, v8, v4
	v_div_fmas_f32 v4, v4, v13, v8
	v_div_fixup_f32 v4, v4, v0, s17
	v_mul_f32_e32 v8, 0x4f800000, v4
	v_cmp_gt_f32_e32 vcc, s0, v4
	v_cmp_ngt_f32_e64 s[0:1], s16, v0
                                        ; implicit-def: $vgpr16
	s_nop 0
	v_cndmask_b32_e32 v8, v4, v8, vcc
	v_sqrt_f32_e32 v9, v8
	v_cndmask_b32_e64 v4, v7, v1, s[0:1]
	v_div_fixup_f32 v1, v6, v0, v5
	v_add_f32_e32 v1, 0xb7b7d95a, v1
	v_add_u32_e32 v5, -1, v9
	v_fma_f32 v6, -v5, v9, v8
	v_cmp_ge_f32_e64 s[0:1], 0, v6
	v_add_u32_e32 v6, 1, v9
	v_fma_f32 v7, -v6, v9, v8
	v_cndmask_b32_e64 v5, v9, v5, s[0:1]
	v_cmp_lt_f32_e64 s[0:1], 0, v7
	s_nop 1
	v_cndmask_b32_e64 v5, v5, v6, s[0:1]
	v_mul_f32_e32 v6, 0x37800000, v5
	v_cndmask_b32_e32 v5, v5, v6, vcc
	v_mov_b32_e32 v6, 0x260
	v_cmp_class_f32_e32 vcc, v8, v6
	s_nop 1
	v_cndmask_b32_e32 v5, v5, v8, vcc
	v_fmac_f32_e32 v5, v4, v1
	v_sub_f32_e32 v6, v5, v4
	v_add_f32_e32 v1, v0, v0
	v_div_scale_f32 v7, s[0:1], v1, v1, v6
	v_rcp_f32_e32 v8, v7
	s_nop 0
	v_fma_f32 v9, -v7, v8, 1.0
	v_fmac_f32_e32 v8, v9, v8
	v_div_scale_f32 v9, vcc, v6, v1, v6
	v_mul_f32_e32 v12, v9, v8
	v_fma_f32 v13, -v7, v12, v9
	v_fmac_f32_e32 v12, v13, v8
	v_fma_f32 v7, -v7, v12, v9
	v_div_fmas_f32 v7, v7, v8, v12
	v_div_fixup_f32 v12, v7, v1, v6
	v_cmp_lt_i32_e32 vcc, 0, v32
                                        ; implicit-def: $vgpr8
                                        ; implicit-def: $vgpr6_vgpr7
	s_and_saveexec_b64 s[0:1], vcc
	s_xor_b64 s[0:1], exec, s[0:1]
	s_cbranch_execz .LBB0_139
; %bb.132:
	v_cmp_lt_i32_e32 vcc, 1, v32
                                        ; implicit-def: $vgpr8
                                        ; implicit-def: $vgpr6_vgpr7
                                        ; implicit-def: $vgpr16
	s_and_saveexec_b64 s[16:17], vcc
	s_xor_b64 s[16:17], exec, s[16:17]
	s_cbranch_execz .LBB0_136
; %bb.133:
	v_mov_b32_e32 v8, 0
	v_mov_b32_e32 v9, v8
	v_cmp_eq_u32_e32 vcc, 2, v32
	v_mov_b64_e32 v[6:7], v[8:9]
	v_mov_b32_e32 v16, v8
	s_and_saveexec_b64 s[18:19], vcc
	s_cbranch_execz .LBB0_135
; %bb.134:
	v_fma_f32 v6, 2.0, v12, v12
	v_sub_f32_e32 v4, v6, v4
	v_div_scale_f32 v6, s[20:21], v1, v1, v4
	v_rcp_f32_e32 v7, v6
	v_div_scale_f32 v8, vcc, v4, v1, v4
	s_mov_b32 s20, 0x25fedf51
	v_fma_f32 v9, -v6, v7, 1.0
	v_fmac_f32_e32 v7, v9, v7
	v_mul_f32_e32 v9, v8, v7
	v_fma_f32 v13, -v6, v9, v8
	v_fmac_f32_e32 v9, v13, v7
	v_fma_f32 v6, -v6, v9, v8
	v_div_fmas_f32 v6, v6, v7, v9
	v_div_fixup_f32 v4, v6, v1, v4
	v_add_f32_e32 v0, 0xc1480000, v0
	s_mov_b32 s21, 0x27f6d9a2
	v_mov_b32_e32 v6, 0xa747bc7d
	v_mov_b32_e32 v7, 0xa8430508
	v_pk_fma_f32 v[6:7], v[0:1], s[20:21], v[6:7] op_sel_hi:[0,1,1]
	s_mov_b32 s20, 0xa937ed9d
	s_mov_b32 s21, 0xab717b68
	v_pk_fma_f32 v[6:7], v[0:1], v[6:7], s[20:21] op_sel_hi:[0,1,1]
	s_mov_b32 s20, 0x2b176e28
	s_mov_b32 s21, 0x2ce9b5e5
	;; [unrolled: 3-line block ×10, first 2 shown]
	v_pk_fma_f32 v[6:7], v[0:1], v[6:7], s[20:21] op_sel_hi:[0,1,1]
	v_mov_b32_e32 v1, 0xa8f64f4f
	v_fmac_f32_e32 v1, 0x27670864, v0
	v_fmaak_f32 v1, v0, v1, 0xaab1bb1a
	v_fmaak_f32 v1, v0, v1, 0x2d183ebc
	;; [unrolled: 1-line block ×12, first 2 shown]
	v_add_f32_e32 v8, 1.0, v16
	v_div_scale_f32 v1, s[20:21], v8, v8, v16
	v_rcp_f32_e32 v9, v1
	s_mov_b32 s20, 0x3c7b638c
	s_mov_b32 s21, 0x3e290a2d
	v_pk_fma_f32 v[6:7], v[0:1], v[6:7], s[20:21] op_sel_hi:[0,1,1]
	v_fma_f32 v0, -v1, v9, 1.0
	v_fmac_f32_e32 v9, v0, v9
	v_div_scale_f32 v0, vcc, v16, v8, v16
	v_mul_f32_e32 v13, v0, v9
	v_fma_f32 v17, -v1, v13, v0
	v_fmac_f32_e32 v13, v17, v9
	v_fma_f32 v17, -v1, v13, v0
	v_pk_add_f32 v[0:1], v[6:7], 1.0 op_sel_hi:[1,0]
	v_div_fmas_f32 v9, v17, v9, v13
	v_div_scale_f32 v20, s[20:21], v1, v1, v7
	v_rcp_f32_e32 v21, v20
	v_div_fixup_f32 v8, v9, v8, v16
	v_fma_f32 v9, -v20, v21, 1.0
	v_fmac_f32_e32 v21, v9, v21
	v_div_scale_f32 v9, vcc, v7, v1, v7
	v_mul_f32_e32 v13, v9, v21
	v_fma_f32 v17, -v20, v13, v9
	v_fmac_f32_e32 v13, v17, v21
	v_div_scale_f32 v17, s[20:21], v0, v0, v6
	v_fma_f32 v9, -v20, v13, v9
	v_rcp_f32_e32 v20, v17
	v_div_fmas_f32 v9, v9, v21, v13
	v_div_fixup_f32 v1, v9, v1, v7
	v_fma_f32 v9, -v17, v20, 1.0
	v_fmac_f32_e32 v20, v9, v20
	v_div_scale_f32 v9, vcc, v6, v0, v6
	v_mul_f32_e32 v13, v9, v20
	v_fma_f32 v21, -v17, v13, v9
	v_fmac_f32_e32 v13, v21, v20
	v_fma_f32 v9, -v17, v13, v9
	v_div_fmas_f32 v9, v9, v20, v13
	v_div_fixup_f32 v0, v9, v0, v6
	v_mul_f32_e32 v22, v5, v0
	v_pk_add_f32 v[98:99], v[8:9], v[0:1] op_sel_hi:[0,1] neg_lo:[0,1] neg_hi:[0,1]
	v_mov_b32_e32 v13, v1
	v_mov_b32_e32 v23, v0
	v_fma_f32 v21, -v12, v0, v4
	v_pk_add_f32 v[12:13], v[12:13], v[22:23] neg_lo:[0,1] neg_hi:[0,1]
	v_mov_b32_e32 v9, v99
	v_pk_mul_f32 v[0:1], v[0:1], v[12:13] op_sel_hi:[1,0]
	v_pk_mul_f32 v[12:13], v[12:13], v[8:9]
	v_mov_b32_e32 v0, v21
	v_mov_b32_e32 v20, v12
	v_pk_mul_f32 v[100:101], v[98:99], v[98:99] op_sel_hi:[1,0]
	v_pk_add_f32 v[0:1], v[20:21], v[0:1] neg_lo:[0,1] neg_hi:[0,1]
	s_nop 0
	v_div_scale_f32 v4, s[20:21], v101, v101, v1
	v_rcp_f32_e32 v8, v4
	s_nop 0
	v_fma_f32 v9, -v4, v8, 1.0
	v_fmac_f32_e32 v8, v9, v8
	v_div_scale_f32 v9, vcc, v1, v101, v1
	v_mul_f32_e32 v12, v9, v8
	v_fma_f32 v17, -v4, v12, v9
	v_fmac_f32_e32 v12, v17, v8
	v_div_scale_f32 v17, s[20:21], v13, v13, v0
	v_rcp_f32_e32 v20, v17
	v_fma_f32 v4, -v4, v12, v9
	v_div_fmas_f32 v4, v4, v8, v12
	v_div_fixup_f32 v9, v4, v101, v1
	v_fma_f32 v1, -v17, v20, 1.0
	v_fmac_f32_e32 v20, v1, v20
	v_div_scale_f32 v1, vcc, v0, v13, v0
	v_mul_f32_e32 v4, v1, v20
	v_fma_f32 v8, -v17, v4, v1
	v_fmac_f32_e32 v4, v8, v20
	v_fma_f32 v1, -v17, v4, v1
	v_div_fmas_f32 v1, v1, v20, v4
	v_div_fixup_f32 v8, v1, v13, v0
	v_sub_f32_e32 v0, v5, v8
	v_sub_f32_e32 v5, v0, v9
.LBB0_135:
	s_or_b64 exec, exec, s[18:19]
                                        ; implicit-def: $vgpr0
                                        ; implicit-def: $vgpr4
                                        ; implicit-def: $vgpr12
.LBB0_136:
	s_andn2_saveexec_b64 s[16:17], s[16:17]
	s_cbranch_execz .LBB0_138
; %bb.137:
	s_mov_b32 s20, 0xc5024921
	v_div_scale_f32 v1, s[18:19], v0, v0, s20
	v_rcp_f32_e32 v6, v1
	s_mov_b32 s21, 0xc6060060
	v_mov_b32_e32 v8, 0x3a9c9bdc
	v_fmac_f32_e32 v8, 0xb72984d9, v0
	v_fma_f32 v7, -v1, v6, 1.0
	v_fmac_f32_e32 v6, v7, v6
	v_div_scale_f32 v7, vcc, s20, v0, s20
	v_mul_f32_e32 v9, v7, v6
	v_fma_f32 v13, -v1, v9, v7
	v_fmac_f32_e32 v9, v13, v6
	v_div_scale_f32 v13, s[18:19], v0, v0, s21
	v_rcp_f32_e32 v16, v13
	v_fma_f32 v1, -v1, v9, v7
	v_div_fmas_f32 v1, v1, v6, v9
	v_div_fixup_f32 v7, v1, v0, s20
	v_fma_f32 v1, -v13, v16, 1.0
	v_fmac_f32_e32 v16, v1, v16
	v_div_scale_f32 v1, vcc, s21, v0, s21
	v_mul_f32_e32 v6, v1, v16
	v_fma_f32 v9, -v13, v6, v1
	v_fmac_f32_e32 v6, v9, v16
	v_fma_f32 v1, -v13, v6, v1
	v_div_fmas_f32 v1, v1, v16, v6
	v_div_fixup_f32 v6, v1, v0, s21
	s_mov_b32 s20, 0x45b8b07a
	s_mov_b32 s21, 0xc4833fb4
	v_pk_add_f32 v[16:17], v[6:7], s[20:21]
	s_mov_b32 s18, 0xbe8cee3d
	v_div_scale_f32 v1, s[20:21], v0, v0, v17
	v_rcp_f32_e32 v13, v1
	s_mov_b32 s19, 0xc02e6238
	v_pk_add_f32 v[6:7], v[0:1], s[18:19] op_sel_hi:[0,1]
	v_mov_b32_e32 v9, 0x39b1bf10
	v_fma_f32 v20, -v1, v13, 1.0
	v_fmac_f32_e32 v13, v20, v13
	v_div_scale_f32 v20, vcc, v17, v0, v17
	v_mul_f32_e32 v21, v20, v13
	v_fma_f32 v22, -v1, v21, v20
	v_fmac_f32_e32 v21, v22, v13
	v_fma_f32 v1, -v1, v21, v20
	v_div_scale_f32 v20, s[18:19], v0, v0, v16
	v_rcp_f32_e32 v22, v20
	v_div_fmas_f32 v1, v1, v13, v21
	v_div_fixup_f32 v17, v1, v0, v17
	s_mov_b32 s18, 0xc4d58275
	v_fma_f32 v1, -v20, v22, 1.0
	v_fmac_f32_e32 v22, v1, v22
	v_div_scale_f32 v1, vcc, v16, v0, v16
	v_mul_f32_e32 v13, v1, v22
	v_fma_f32 v21, -v20, v13, v1
	v_fmac_f32_e32 v13, v21, v22
	v_fma_f32 v1, -v20, v13, v1
	v_div_fmas_f32 v1, v1, v22, v13
	v_div_fixup_f32 v16, v1, v0, v16
	s_mov_b32 s19, 0x43a9f21d
	v_pk_add_f32 v[16:17], v[16:17], s[18:19]
	s_mov_b32 s20, 0x402e6238
	v_div_scale_f32 v1, s[18:19], v0, v0, v17
	v_rcp_f32_e32 v13, v1
	s_mov_b32 s18, 0xbd89fc71
	s_mov_b32 s19, 0xbdbf7bb1
	v_pk_fma_f32 v[8:9], v[0:1], v[8:9], s[18:19] op_sel_hi:[0,1,1]
	v_fma_f32 v20, -v1, v13, 1.0
	v_fmac_f32_e32 v13, v20, v13
	v_div_scale_f32 v20, vcc, v17, v0, v17
	v_mul_f32_e32 v21, v20, v13
	v_fma_f32 v22, -v1, v21, v20
	v_fmac_f32_e32 v21, v22, v13
	v_fma_f32 v1, -v1, v21, v20
	v_div_scale_f32 v20, s[18:19], v0, v0, v16
	v_rcp_f32_e32 v22, v20
	v_div_fmas_f32 v1, v1, v13, v21
	v_div_fixup_f32 v17, v1, v0, v17
	s_mov_b32 s18, 0x438444b2
	v_fma_f32 v1, -v20, v22, 1.0
	v_fmac_f32_e32 v22, v1, v22
	v_div_scale_f32 v1, vcc, v16, v0, v16
	v_mul_f32_e32 v13, v1, v22
	v_fma_f32 v21, -v20, v13, v1
	v_fmac_f32_e32 v13, v21, v22
	v_fma_f32 v1, -v20, v13, v1
	v_div_fmas_f32 v1, v1, v22, v13
	v_div_fixup_f32 v16, v1, v0, v16
	s_mov_b32 s19, 0xc31c2f4f
	v_pk_add_f32 v[16:17], v[16:17], s[18:19]
	s_mov_b32 s21, 0x3e8cee3d
	v_div_scale_f32 v1, s[18:19], v0, v0, v17
	v_rcp_f32_e32 v13, v1
	s_mov_b32 s18, 0x3fa0e734
	s_mov_b32 s19, 0xc0871bf9
	v_pk_fma_f32 v[8:9], v[0:1], v[8:9], s[18:19] op_sel_hi:[0,1,1]
	v_fma_f32 v20, -v1, v13, 1.0
	v_fmac_f32_e32 v13, v20, v13
	v_div_scale_f32 v20, vcc, v17, v0, v17
	v_mul_f32_e32 v21, v20, v13
	v_fma_f32 v22, -v1, v21, v20
	v_fmac_f32_e32 v21, v22, v13
	v_fma_f32 v1, -v1, v21, v20
	v_div_scale_f32 v20, s[18:19], v0, v0, v16
	v_rcp_f32_e32 v22, v20
	v_div_fmas_f32 v1, v1, v13, v21
	v_div_fixup_f32 v17, v1, v0, v17
	v_fma_f32 v1, -v20, v22, 1.0
	v_fmac_f32_e32 v22, v1, v22
	v_div_scale_f32 v1, vcc, v16, v0, v16
	v_mul_f32_e32 v13, v1, v22
	v_fma_f32 v21, -v20, v13, v1
	v_fmac_f32_e32 v13, v21, v22
	v_fma_f32 v1, -v20, v13, v1
	v_div_fmas_f32 v1, v1, v22, v13
	v_div_fixup_f32 v16, v1, v0, v16
	v_pk_fma_f32 v[0:1], v[0:1], v[8:9], v[16:17] op_sel_hi:[0,1,1]
	v_div_scale_f32 v8, s[18:19], v7, v7, s20
	v_rcp_f32_e32 v9, v8
	s_mov_b32 s18, 0xc1bedb3d
	s_mov_b32 s19, 0x4100225e
	v_pk_add_f32 v[0:1], v[0:1], s[18:19]
	v_fma_f32 v13, -v8, v9, 1.0
	v_fmac_f32_e32 v9, v13, v9
	v_div_scale_f32 v13, vcc, s20, v7, s20
	v_mul_f32_e32 v16, v13, v9
	v_fma_f32 v17, -v8, v16, v13
	v_fmac_f32_e32 v16, v17, v9
	v_fma_f32 v8, -v8, v16, v13
	v_div_scale_f32 v13, s[18:19], v6, v6, s21
	v_rcp_f32_e32 v17, v13
	v_div_fmas_f32 v8, v8, v9, v16
	v_div_fixup_f32 v7, v8, v7, s20
	v_fma_f32 v8, -v13, v17, 1.0
	v_fmac_f32_e32 v17, v8, v17
	v_div_scale_f32 v8, vcc, s21, v6, s21
	v_mul_f32_e32 v9, v8, v17
	v_fma_f32 v16, -v13, v9, v8
	v_fmac_f32_e32 v9, v16, v17
	v_fma_f32 v8, -v13, v9, v8
	v_div_fmas_f32 v8, v8, v17, v9
	v_div_fixup_f32 v6, v8, v6, s21
	v_pk_fma_f32 v[6:7], v[4:5], v[0:1], v[6:7] op_sel_hi:[0,1,1]
	v_sub_f32_e32 v0, v12, v5
	v_fmac_f32_e32 v12, v0, v6
	v_add_f32_e32 v0, 1.0, v7
	v_mul_f32_e32 v0, v0, v12
	v_sub_f32_e32 v1, v7, v6
	v_div_scale_f32 v4, s[18:19], v1, v1, v0
	v_rcp_f32_e32 v8, v4
	v_mov_b32_e32 v16, 0
	v_fma_f32 v9, -v4, v8, 1.0
	v_fmac_f32_e32 v8, v9, v8
	v_div_scale_f32 v9, vcc, v0, v1, v0
	v_mul_f32_e32 v12, v9, v8
	v_fma_f32 v13, -v4, v12, v9
	v_fmac_f32_e32 v12, v13, v8
	v_fma_f32 v4, -v4, v12, v9
	v_div_fmas_f32 v4, v4, v8, v12
	v_div_fixup_f32 v8, v4, v1, v0
	v_sub_f32_e32 v5, v5, v8
	v_mov_b32_e32 v9, 0
.LBB0_138:
	s_or_b64 exec, exec, s[16:17]
                                        ; implicit-def: $vgpr12
.LBB0_139:
	s_andn2_saveexec_b64 s[0:1], s[0:1]
	s_cbranch_execz .LBB0_143
; %bb.140:
	v_mov_b32_e32 v8, 0
	v_mov_b32_e32 v9, v8
	v_cmp_eq_u32_e32 vcc, 0, v32
	v_mov_b64_e32 v[6:7], v[8:9]
	s_and_saveexec_b64 s[16:17], vcc
	s_cbranch_execz .LBB0_142
; %bb.141:
	v_sub_f32_e32 v0, v5, v12
	v_div_scale_f32 v1, s[18:19], v0, v0, v12
	v_rcp_f32_e32 v4, v1
	v_div_scale_f32 v6, vcc, v12, v0, v12
	v_fma_f32 v7, -v1, v4, 1.0
	v_fmac_f32_e32 v4, v7, v4
	v_mul_f32_e32 v7, v6, v4
	v_fma_f32 v9, -v1, v7, v6
	v_fmac_f32_e32 v7, v9, v4
	v_fma_f32 v1, -v1, v7, v6
	v_div_fmas_f32 v1, v1, v4, v7
	v_div_fixup_f32 v6, v1, v0, v12
	v_mov_b32_e32 v7, 0
.LBB0_142:
	s_or_b64 exec, exec, s[16:17]
	v_mov_b32_e32 v9, 0
	v_mov_b32_e32 v16, 0
.LBB0_143:
	s_or_b64 exec, exec, s[0:1]
.LBB0_144:
	s_or_b64 exec, exec, s[14:15]
                                        ; implicit-def: $vgpr0
.LBB0_145:
	s_andn2_saveexec_b64 s[12:13], s[12:13]
	s_cbranch_execz .LBB0_159
; %bb.146:
	s_mov_b32 s14, 0x3ef01d82
	v_div_scale_f32 v1, s[0:1], v0, v0, s14
	v_rcp_f32_e32 v4, v1
	v_div_scale_f32 v5, vcc, s14, v0, s14
	s_mov_b32 s15, 0x3f490fdb
	v_fma_f32 v6, -v1, v4, 1.0
	v_fmac_f32_e32 v4, v6, v4
	v_mul_f32_e32 v6, v5, v4
	v_fma_f32 v7, -v1, v6, v5
	v_fmac_f32_e32 v6, v7, v4
	v_fma_f32 v1, -v1, v6, v5
	v_div_fmas_f32 v1, v1, v4, v6
	v_div_fixup_f32 v1, v1, v0, s14
	v_add_f32_e32 v1, 0xbf33161b, v1
	v_div_scale_f32 v4, s[0:1], v0, v0, v1
	v_rcp_f32_e32 v5, v4
	v_mul_f32_e32 v6, 0xbfb8aa3b, v0
	s_mov_b32 s14, 0xbfb8aa3b
	v_rndne_f32_e32 v7, v6
	v_fma_f32 v8, -v4, v5, 1.0
	v_fmac_f32_e32 v5, v8, v5
	v_div_scale_f32 v8, vcc, v1, v0, v1
	v_mul_f32_e32 v9, v8, v5
	v_fma_f32 v12, -v4, v9, v8
	v_fmac_f32_e32 v9, v12, v5
	v_fma_f32 v4, -v4, v9, v8
	v_div_fmas_f32 v4, v4, v5, v9
	v_div_fixup_f32 v1, v4, v0, v1
	v_add_f32_e32 v1, 0x3f0971cf, v1
	v_div_scale_f32 v4, s[0:1], v0, v0, v1
	v_rcp_f32_e32 v5, v4
	v_sub_f32_e32 v8, v6, v7
	v_fma_f32 v6, v0, s14, -v6
	v_fmamk_f32 v6, v0, 0xb2a5705f, v6
	v_fma_f32 v9, -v4, v5, 1.0
	v_fmac_f32_e32 v5, v9, v5
	v_div_scale_f32 v9, vcc, v1, v0, v1
	v_mul_f32_e32 v12, v9, v5
	v_fma_f32 v13, -v4, v12, v9
	v_fmac_f32_e32 v12, v13, v5
	v_fma_f32 v4, -v4, v12, v9
	v_div_fmas_f32 v4, v4, v5, v12
	v_div_fixup_f32 v1, v4, v0, v1
	v_add_f32_e32 v1, 0xbea85c72, v1
	v_div_scale_f32 v4, s[0:1], v0, v0, v1
	v_rcp_f32_e32 v5, v4
	v_add_f32_e32 v6, v8, v6
	v_exp_f32_e32 v6, v6
	v_cvt_i32_f32_e32 v7, v7
	v_fma_f32 v8, -v4, v5, 1.0
	v_fmac_f32_e32 v5, v8, v5
	v_div_scale_f32 v8, vcc, v1, v0, v1
	v_mul_f32_e32 v9, v8, v5
	v_fma_f32 v12, -v4, v9, v8
	v_fmac_f32_e32 v9, v12, v5
	v_fma_f32 v4, -v4, v9, v8
	v_div_fmas_f32 v4, v4, v5, v9
	v_div_fixup_f32 v1, v4, v0, v1
	v_add_f32_e32 v1, 0x3e7c5ef4, v1
	v_div_scale_f32 v4, s[0:1], v0, v0, v1
	v_rcp_f32_e32 v5, v4
	v_ldexp_f32 v6, v6, v7
	s_mov_b32 s14, 0x42ce8ed0
                                        ; implicit-def: $vgpr16
	v_fma_f32 v7, -v4, v5, 1.0
	v_fmac_f32_e32 v5, v7, v5
	v_div_scale_f32 v7, vcc, v1, v0, v1
	v_mul_f32_e32 v8, v7, v5
	v_fma_f32 v9, -v4, v8, v7
	v_fmac_f32_e32 v8, v9, v5
	v_fma_f32 v4, -v4, v8, v7
	v_div_fmas_f32 v4, v4, v5, v8
	v_div_fixup_f32 v1, v4, v0, v1
	v_add_f32_e32 v4, 0xbeffeb20, v1
	v_div_scale_f32 v1, s[0:1], v0, v0, v4
	v_rcp_f32_e32 v5, v1
	v_cmp_nlt_f32_e32 vcc, s14, v0
	s_mov_b32 s14, 0xc2b17218
	v_mov_b32_e32 v7, 0x7f800000
	v_fma_f32 v8, -v1, v5, 1.0
	v_cndmask_b32_e32 v6, 0, v6, vcc
	v_fmac_f32_e32 v5, v8, v5
	v_div_scale_f32 v8, vcc, v4, v0, v4
	v_mul_f32_e32 v9, v8, v5
	v_fma_f32 v12, -v1, v9, v8
	v_fmac_f32_e32 v9, v12, v5
	v_div_scale_f32 v12, s[0:1], v0, v0, s15
	v_rcp_f32_e32 v13, v12
	v_fma_f32 v1, -v1, v9, v8
	v_div_fmas_f32 v5, v1, v5, v9
	s_mov_b32 s0, 0xf800000
	v_fma_f32 v1, -v12, v13, 1.0
	v_fmac_f32_e32 v13, v1, v13
	v_div_scale_f32 v1, vcc, s15, v0, s15
	v_mul_f32_e32 v8, v1, v13
	v_fma_f32 v9, -v12, v8, v1
	v_fmac_f32_e32 v8, v9, v13
	v_fma_f32 v1, -v12, v8, v1
	v_div_fmas_f32 v1, v1, v13, v8
	v_div_fixup_f32 v1, v1, v0, s15
	v_mul_f32_e32 v8, 0x4f800000, v1
	v_cmp_gt_f32_e32 vcc, s0, v1
	v_cmp_ngt_f32_e64 s[0:1], s14, v0
	v_div_fixup_f32 v4, v5, v0, v4
	v_cndmask_b32_e32 v8, v1, v8, vcc
	v_sqrt_f32_e32 v9, v8
	v_cndmask_b32_e64 v1, v7, v6, s[0:1]
	v_add_f32_e32 v4, 0xb6536671, v4
	v_add_u32_e32 v5, -1, v9
	v_fma_f32 v6, -v5, v9, v8
	v_cmp_ge_f32_e64 s[0:1], 0, v6
	v_add_u32_e32 v6, 1, v9
	v_fma_f32 v7, -v6, v9, v8
	v_cndmask_b32_e64 v5, v9, v5, s[0:1]
	v_cmp_lt_f32_e64 s[0:1], 0, v7
	s_nop 1
	v_cndmask_b32_e64 v5, v5, v6, s[0:1]
	v_mul_f32_e32 v6, 0x37800000, v5
	v_cndmask_b32_e32 v5, v5, v6, vcc
	v_mov_b32_e32 v6, 0x260
	v_cmp_class_f32_e32 vcc, v8, v6
	s_nop 1
	v_cndmask_b32_e32 v5, v5, v8, vcc
	v_fmac_f32_e32 v5, v1, v4
	v_sub_f32_e32 v6, v5, v1
	v_add_f32_e32 v4, v0, v0
	v_div_scale_f32 v7, s[0:1], v4, v4, v6
	v_rcp_f32_e32 v8, v7
	s_nop 0
	v_fma_f32 v9, -v7, v8, 1.0
	v_fmac_f32_e32 v8, v9, v8
	v_div_scale_f32 v9, vcc, v6, v4, v6
	v_mul_f32_e32 v12, v9, v8
	v_fma_f32 v13, -v7, v12, v9
	v_fmac_f32_e32 v12, v13, v8
	v_fma_f32 v7, -v7, v12, v9
	v_div_fmas_f32 v7, v7, v8, v12
	v_div_fixup_f32 v12, v7, v4, v6
	v_cmp_lt_i32_e32 vcc, 0, v32
                                        ; implicit-def: $vgpr8
                                        ; implicit-def: $vgpr6_vgpr7
	s_and_saveexec_b64 s[0:1], vcc
	s_xor_b64 s[0:1], exec, s[0:1]
	s_cbranch_execz .LBB0_154
; %bb.147:
	v_cmp_lt_i32_e32 vcc, 1, v32
                                        ; implicit-def: $vgpr8
                                        ; implicit-def: $vgpr6_vgpr7
                                        ; implicit-def: $vgpr16
	s_and_saveexec_b64 s[14:15], vcc
	s_xor_b64 s[14:15], exec, s[14:15]
	s_cbranch_execz .LBB0_151
; %bb.148:
	v_mov_b32_e32 v8, 0
	v_mov_b32_e32 v9, v8
	v_cmp_eq_u32_e32 vcc, 2, v32
	v_mov_b64_e32 v[6:7], v[8:9]
	v_mov_b32_e32 v16, v8
	s_and_saveexec_b64 s[16:17], vcc
	s_cbranch_execz .LBB0_150
; %bb.149:
	v_fma_f32 v6, 2.0, v12, v12
	v_sub_f32_e32 v1, v6, v1
	v_div_scale_f32 v6, s[18:19], v4, v4, v1
	v_rcp_f32_e32 v7, v6
	v_div_scale_f32 v8, vcc, v1, v4, v1
	s_mov_b32 s18, 0x26259169
	v_fma_f32 v9, -v6, v7, 1.0
	v_fmac_f32_e32 v7, v9, v7
	v_mul_f32_e32 v9, v8, v7
	v_fma_f32 v13, -v6, v9, v8
	v_fmac_f32_e32 v9, v13, v7
	v_fma_f32 v6, -v6, v9, v8
	v_div_fmas_f32 v6, v6, v7, v9
	v_div_fixup_f32 v4, v6, v4, v1
	v_add_f32_e32 v0, 0xc0f00000, v0
	s_mov_b32 s19, 0x284c6614
	v_mov_b32_e32 v6, 0x264d2fc8
	v_mov_b32_e32 v7, 0x27fbf9fd
	v_pk_fma_f32 v[6:7], v[0:1], s[18:19], v[6:7] op_sel_hi:[0,1,1]
	s_mov_b32 s18, 0xa997b271
	s_mov_b32 s19, 0xab71f1f5
	v_pk_fma_f32 v[6:7], v[0:1], v[6:7], s[18:19] op_sel_hi:[0,1,1]
	s_mov_b32 s18, 0xab30554d
	s_mov_b32 s19, 0xacba40b2
	;; [unrolled: 3-line block ×10, first 2 shown]
	v_pk_fma_f32 v[6:7], v[0:1], v[6:7], s[18:19] op_sel_hi:[0,1,1]
	v_mov_b32_e32 v1, 0x2a503dd5
	v_fmac_f32_e32 v1, 0x27f012f7, v0
	v_fmaak_f32 v1, v0, v1, 0xac0bb11f
	v_fmaak_f32 v1, v0, v1, 0xadcb20ac
	;; [unrolled: 1-line block ×12, first 2 shown]
	v_add_f32_e32 v8, 1.0, v16
	v_div_scale_f32 v1, s[18:19], v8, v8, v16
	v_rcp_f32_e32 v9, v1
	s_mov_b32 s18, 0x3cc3e179
	s_mov_b32 s19, 0x3e8d4bde
	v_pk_fma_f32 v[6:7], v[0:1], v[6:7], s[18:19] op_sel_hi:[0,1,1]
	v_fma_f32 v0, -v1, v9, 1.0
	v_fmac_f32_e32 v9, v0, v9
	v_div_scale_f32 v0, vcc, v16, v8, v16
	v_mul_f32_e32 v13, v0, v9
	v_fma_f32 v17, -v1, v13, v0
	v_fmac_f32_e32 v13, v17, v9
	v_fma_f32 v17, -v1, v13, v0
	v_pk_add_f32 v[0:1], v[6:7], 1.0 op_sel_hi:[1,0]
	v_div_fmas_f32 v9, v17, v9, v13
	v_div_scale_f32 v20, s[18:19], v1, v1, v7
	v_rcp_f32_e32 v21, v20
	v_div_fixup_f32 v8, v9, v8, v16
	v_fma_f32 v9, -v20, v21, 1.0
	v_fmac_f32_e32 v21, v9, v21
	v_div_scale_f32 v9, vcc, v7, v1, v7
	v_mul_f32_e32 v13, v9, v21
	v_fma_f32 v17, -v20, v13, v9
	v_fmac_f32_e32 v13, v17, v21
	v_div_scale_f32 v17, s[18:19], v0, v0, v6
	v_fma_f32 v9, -v20, v13, v9
	v_rcp_f32_e32 v20, v17
	v_div_fmas_f32 v9, v9, v21, v13
	v_div_fixup_f32 v1, v9, v1, v7
	v_fma_f32 v9, -v17, v20, 1.0
	v_fmac_f32_e32 v20, v9, v20
	v_div_scale_f32 v9, vcc, v6, v0, v6
	v_mul_f32_e32 v13, v9, v20
	v_fma_f32 v21, -v17, v13, v9
	v_fmac_f32_e32 v13, v21, v20
	v_fma_f32 v9, -v17, v13, v9
	v_div_fmas_f32 v9, v9, v20, v13
	v_div_fixup_f32 v0, v9, v0, v6
	v_mul_f32_e32 v22, v5, v0
	v_pk_add_f32 v[98:99], v[8:9], v[0:1] op_sel_hi:[0,1] neg_lo:[0,1] neg_hi:[0,1]
	v_mov_b32_e32 v13, v1
	v_mov_b32_e32 v23, v0
	v_fma_f32 v21, -v12, v0, v4
	v_pk_add_f32 v[12:13], v[12:13], v[22:23] neg_lo:[0,1] neg_hi:[0,1]
	v_mov_b32_e32 v9, v99
	v_pk_mul_f32 v[0:1], v[0:1], v[12:13] op_sel_hi:[1,0]
	v_pk_mul_f32 v[12:13], v[12:13], v[8:9]
	v_mov_b32_e32 v0, v21
	v_mov_b32_e32 v20, v12
	v_pk_mul_f32 v[100:101], v[98:99], v[98:99] op_sel_hi:[1,0]
	v_pk_add_f32 v[0:1], v[20:21], v[0:1] neg_lo:[0,1] neg_hi:[0,1]
	s_nop 0
	v_div_scale_f32 v4, s[18:19], v101, v101, v1
	v_rcp_f32_e32 v8, v4
	s_nop 0
	v_fma_f32 v9, -v4, v8, 1.0
	v_fmac_f32_e32 v8, v9, v8
	v_div_scale_f32 v9, vcc, v1, v101, v1
	v_mul_f32_e32 v12, v9, v8
	v_fma_f32 v17, -v4, v12, v9
	v_fmac_f32_e32 v12, v17, v8
	v_div_scale_f32 v17, s[18:19], v13, v13, v0
	v_rcp_f32_e32 v20, v17
	v_fma_f32 v4, -v4, v12, v9
	v_div_fmas_f32 v4, v4, v8, v12
	v_div_fixup_f32 v9, v4, v101, v1
	v_fma_f32 v1, -v17, v20, 1.0
	v_fmac_f32_e32 v20, v1, v20
	v_div_scale_f32 v1, vcc, v0, v13, v0
	v_mul_f32_e32 v4, v1, v20
	v_fma_f32 v8, -v17, v4, v1
	v_fmac_f32_e32 v4, v8, v20
	v_fma_f32 v1, -v17, v4, v1
	v_div_fmas_f32 v1, v1, v20, v4
	v_div_fixup_f32 v8, v1, v13, v0
	v_sub_f32_e32 v0, v5, v8
	v_sub_f32_e32 v5, v0, v9
.LBB0_150:
	s_or_b64 exec, exec, s[16:17]
                                        ; implicit-def: $vgpr0
                                        ; implicit-def: $vgpr12
.LBB0_151:
	s_andn2_saveexec_b64 s[14:15], s[14:15]
	s_cbranch_execz .LBB0_153
; %bb.152:
	v_add_f32_e32 v0, 0xc0f00000, v0
	v_mov_b32_e32 v6, 0x25894ff5
	s_mov_b32 s16, 0x2874b170
	v_fmac_f32_e32 v6, 0xa52598e6, v0
	v_mov_b32_e32 v7, 0x28e01771
	s_mov_b32 s17, 0xaa19400c
	v_pk_fma_f32 v[6:7], v[0:1], v[6:7], s[16:17] op_sel_hi:[0,1,1]
	s_mov_b32 s16, 0xa99f1434
	s_mov_b32 s17, 0xac1c860c
	v_pk_fma_f32 v[6:7], v[0:1], v[6:7], s[16:17] op_sel_hi:[0,1,1]
	s_mov_b32 s16, 0xab59476c
	;; [unrolled: 3-line block ×12, first 2 shown]
	s_mov_b32 s17, 0x3f0b75bc
	v_pk_fma_f32 v[6:7], v[0:1], v[6:7], s[16:17] op_sel_hi:[0,1,1]
	v_sub_f32_e32 v0, v12, v5
	v_fmac_f32_e32 v12, v0, v6
	v_add_f32_e32 v0, 1.0, v7
	v_mul_f32_e32 v0, v0, v12
	v_sub_f32_e32 v1, v7, v6
	v_div_scale_f32 v4, s[16:17], v1, v1, v0
	v_rcp_f32_e32 v8, v4
	v_mov_b32_e32 v16, 0
	v_fma_f32 v9, -v4, v8, 1.0
	v_fmac_f32_e32 v8, v9, v8
	v_div_scale_f32 v9, vcc, v0, v1, v0
	v_mul_f32_e32 v12, v9, v8
	v_fma_f32 v13, -v4, v12, v9
	v_fmac_f32_e32 v12, v13, v8
	v_fma_f32 v4, -v4, v12, v9
	v_div_fmas_f32 v4, v4, v8, v12
	v_div_fixup_f32 v8, v4, v1, v0
	v_sub_f32_e32 v5, v5, v8
	v_mov_b32_e32 v9, 0
.LBB0_153:
	s_or_b64 exec, exec, s[14:15]
                                        ; implicit-def: $vgpr12
.LBB0_154:
	s_andn2_saveexec_b64 s[0:1], s[0:1]
	s_cbranch_execz .LBB0_158
; %bb.155:
	v_mov_b32_e32 v8, 0
	v_mov_b32_e32 v9, v8
	v_cmp_eq_u32_e32 vcc, 0, v32
	v_mov_b64_e32 v[6:7], v[8:9]
	s_and_saveexec_b64 s[14:15], vcc
	s_cbranch_execz .LBB0_157
; %bb.156:
	v_sub_f32_e32 v0, v5, v12
	v_div_scale_f32 v1, s[16:17], v0, v0, v12
	v_rcp_f32_e32 v4, v1
	v_div_scale_f32 v6, vcc, v12, v0, v12
	v_fma_f32 v7, -v1, v4, 1.0
	v_fmac_f32_e32 v4, v7, v4
	v_mul_f32_e32 v7, v6, v4
	v_fma_f32 v9, -v1, v7, v6
	v_fmac_f32_e32 v7, v9, v4
	v_fma_f32 v1, -v1, v7, v6
	v_div_fmas_f32 v1, v1, v4, v7
	v_div_fixup_f32 v6, v1, v0, v12
	v_mov_b32_e32 v7, 0
.LBB0_157:
	s_or_b64 exec, exec, s[14:15]
	v_mov_b32_e32 v9, 0
	v_mov_b32_e32 v16, 0
.LBB0_158:
	s_or_b64 exec, exec, s[0:1]
.LBB0_159:
	s_or_b64 exec, exec, s[12:13]
                                        ; implicit-def: $vgpr0
.LBB0_160:
	s_andn2_saveexec_b64 s[0:1], s[10:11]
	s_cbranch_execz .LBB0_466
; %bb.161:
	v_add_f32_e32 v4, -4.0, v0
	v_cmp_lt_i32_e32 vcc, 0, v32
                                        ; implicit-def: $vgpr8
                                        ; implicit-def: $vgpr5
                                        ; implicit-def: $vgpr6_vgpr7
                                        ; implicit-def: $vgpr16
	s_and_saveexec_b64 s[10:11], vcc
	s_xor_b64 s[10:11], exec, s[10:11]
	s_cbranch_execz .LBB0_169
; %bb.162:
	v_cmp_lt_i32_e32 vcc, 1, v32
                                        ; implicit-def: $vgpr8
                                        ; implicit-def: $vgpr5
                                        ; implicit-def: $vgpr6_vgpr7
                                        ; implicit-def: $vgpr16
	s_and_saveexec_b64 s[12:13], vcc
	s_xor_b64 s[12:13], exec, s[12:13]
	s_cbranch_execz .LBB0_166
; %bb.163:
	v_mov_b32_e32 v8, 0
	v_mov_b32_e32 v9, v8
	v_cmp_eq_u32_e32 vcc, 2, v32
	v_mov_b32_e32 v5, v8
	v_mov_b64_e32 v[6:7], v[8:9]
	v_mov_b32_e32 v16, v8
	s_and_saveexec_b64 s[14:15], vcc
	s_cbranch_execz .LBB0_165
; %bb.164:
	v_mov_b32_e32 v1, 0xb18f14fa
	v_fmac_f32_e32 v1, 0xafd7f66f, v4
	v_fmaak_f32 v1, v4, v1, 0x333e03d4
	v_fmaak_f32 v1, v4, v1, 0x352bf3f3
	v_mov_b32_e32 v7, 0x2f59351d
	s_mov_b32 s16, 0xb000439b
	v_fmaak_f32 v1, v4, v1, 0xb64d06a4
	v_fmac_f32_e32 v7, 0xade98f26, v4
	v_mov_b32_e32 v6, 0x2d7dcb80
	s_mov_b32 s17, 0x31146a0b
	v_fmaak_f32 v1, v4, v1, 0xb8dcd299
	v_pk_fma_f32 v[6:7], v[4:5], v[6:7], s[16:17] op_sel_hi:[0,1,1]
	s_mov_b32 s16, 0x32036958
	v_fmaak_f32 v1, v4, v1, 0xba20fcf6
	s_mov_b32 s17, 0xb3aabc19
	v_fmaak_f32 v1, v4, v1, 0x3d48912e
	v_pk_fma_f32 v[6:7], v[4:5], v[6:7], s[16:17] op_sel_hi:[0,1,1]
	s_mov_b32 s16, 0xb4041055
	v_fmaak_f32 v1, v4, v1, 0xbf1fdf20
	s_mov_b32 s17, 0x350a4009
	v_fmaak_f32 v16, v4, v1, 0x40574dcb
	v_mov_b32_e32 v1, 0x2f9ef5e4
	v_pk_fma_f32 v[6:7], v[4:5], v[6:7], s[16:17] op_sel_hi:[0,1,1]
	s_mov_b32 s16, 0x3607f674
	v_fmac_f32_e32 v1, 0xadd04817, v4
	s_mov_b32 s17, 0x373b8ce3
	v_fmaak_f32 v1, v4, v1, 0xb15a9abc
	v_pk_fma_f32 v[6:7], v[4:5], v[6:7], s[16:17] op_sel_hi:[0,1,1]
	s_mov_b32 s16, 0xb7f0cb3c
	v_fmaak_f32 v1, v4, v1, 0x330bbb29
	s_mov_b32 s17, 0xb9aef9bb
	v_fmaak_f32 v1, v4, v1, 0xb4a187c8
	v_pk_fma_f32 v[6:7], v[4:5], v[6:7], s[16:17] op_sel_hi:[0,1,1]
	s_mov_b32 s16, 0x39c22871
	v_fmaak_f32 v1, v4, v1, 0x3626eec8
	s_mov_b32 s17, 0x3badde13
	v_fmaak_f32 v1, v4, v1, 0xb798214c
	v_pk_fma_f32 v[6:7], v[4:5], v[6:7], s[16:17] op_sel_hi:[0,1,1]
	s_mov_b32 s16, 0xbb89f492
	v_fmaak_f32 v1, v4, v1, 0x38f02260
	s_mov_b32 s17, 0xbd73173b
	v_fmaak_f32 v1, v4, v1, 0xba2011ae
	v_pk_fma_f32 v[6:7], v[4:5], v[6:7], s[16:17] op_sel_hi:[0,1,1]
	s_mov_b32 s16, 0x3d0fba5f
	v_fmaak_f32 v1, v4, v1, 0x3b2d65dd
	s_mov_b32 s17, 0x3edcc3b2
	v_fmaak_f32 v1, v4, v1, 0xbc0df41e
	v_pk_fma_f32 v[6:7], v[4:5], v[6:7], s[16:17] op_sel_hi:[0,1,1]
	v_mul_f32_e32 v1, v4, v1
	v_mul_f32_e32 v4, 0xbfb8aa3b, v0
	s_mov_b32 s16, 0xbfb8aa3b
	v_rndne_f32_e32 v5, v4
	v_sub_f32_e32 v8, v4, v5
	v_fma_f32 v4, v0, s16, -v4
	v_fmamk_f32 v4, v0, 0xb2a5705f, v4
	v_add_f32_e32 v4, v8, v4
	v_exp_f32_e32 v4, v4
	v_cvt_i32_f32_e32 v5, v5
	s_mov_b32 s16, 0x42ce8ed0
	v_cmp_nlt_f32_e32 vcc, s16, v0
	s_mov_b32 s16, 0xc2b17218
	v_ldexp_f32 v4, v4, v5
	v_cndmask_b32_e32 v4, 0, v4, vcc
	v_cmp_ngt_f32_e32 vcc, s16, v0
	v_mov_b32_e32 v5, 0x7f800000
	s_mov_b32 s18, 0x40400000
	v_cndmask_b32_e32 v5, v5, v4, vcc
	v_add_f32_e32 v4, 1.0, v16
	v_div_scale_f32 v8, s[16:17], v4, v4, v16
	v_rcp_f32_e32 v9, v8
	s_nop 0
	v_fma_f32 v12, -v8, v9, 1.0
	v_fmac_f32_e32 v9, v12, v9
	v_div_scale_f32 v12, vcc, v16, v4, v16
	v_mul_f32_e32 v13, v12, v9
	v_fma_f32 v17, -v8, v13, v12
	v_fmac_f32_e32 v13, v17, v9
	v_fma_f32 v8, -v8, v13, v12
	v_div_fmas_f32 v8, v8, v9, v13
	v_mov_b32_e32 v13, 0x3c8f923b
	v_mov_b32_e32 v12, v0
	v_pk_add_f32 v[0:1], v[0:1], v[12:13]
	v_div_fixup_f32 v8, v8, v4, v16
	v_fma_f32 v4, v0, v1, v5
	v_div_scale_f32 v9, s[16:17], s18, s18, v4
	v_rcp_f32_e32 v12, v9
	s_nop 0
	v_fma_f32 v13, -v9, v12, 1.0
	v_fmac_f32_e32 v12, v13, v12
	v_div_scale_f32 v13, vcc, v4, s18, v4
	v_mul_f32_e32 v17, v13, v12
	v_fma_f32 v20, -v9, v17, v13
	v_fmac_f32_e32 v17, v20, v12
	v_fma_f32 v9, -v9, v17, v13
	v_div_fmas_f32 v9, v9, v12, v17
	v_pk_add_f32 v[12:13], v[6:7], 1.0 op_sel_hi:[1,0]
	v_div_fixup_f32 v4, v9, s18, v4
	v_div_scale_f32 v9, s[16:17], v13, v13, v7
	v_rcp_f32_e32 v17, v9
	v_fmac_f32_e32 v5, v0, v4
	v_mov_b32_e32 v0, v1
	v_mov_b32_e32 v1, v4
	v_fma_f32 v20, -v9, v17, 1.0
	v_fmac_f32_e32 v17, v20, v17
	v_div_scale_f32 v20, vcc, v7, v13, v7
	v_mul_f32_e32 v21, v20, v17
	v_fma_f32 v22, -v9, v21, v20
	v_fmac_f32_e32 v21, v22, v17
	v_fma_f32 v9, -v9, v21, v20
	v_div_fmas_f32 v9, v9, v17, v21
	v_div_fixup_f32 v13, v9, v13, v7
	v_div_scale_f32 v9, s[16:17], v12, v12, v6
	v_rcp_f32_e32 v17, v9
	s_nop 0
	v_fma_f32 v20, -v9, v17, 1.0
	v_fmac_f32_e32 v17, v20, v17
	v_div_scale_f32 v20, vcc, v6, v12, v6
	v_mul_f32_e32 v21, v20, v17
	v_fma_f32 v22, -v9, v21, v20
	v_fmac_f32_e32 v21, v22, v17
	v_fma_f32 v9, -v9, v21, v20
	v_div_fmas_f32 v9, v9, v17, v21
	v_div_fixup_f32 v12, v9, v12, v6
	v_pk_fma_f32 v[0:1], v[12:13], v[4:5], v[0:1] op_sel_hi:[0,1,1] neg_lo:[1,0,0] neg_hi:[1,0,0]
	v_pk_add_f32 v[22:23], v[8:9], v[12:13] op_sel_hi:[0,1] neg_lo:[0,1] neg_hi:[0,1]
	v_mov_b32_e32 v9, v12
	v_pk_mul_f32 v[20:21], v[12:13], v[0:1]
	v_pk_add_f32 v[12:13], v[12:13], v[8:9] neg_lo:[0,1] neg_hi:[0,1]
	v_pk_mul_f32 v[98:99], v[22:23], v[22:23] op_sel_hi:[1,0]
	v_mov_b32_e32 v9, v13
	v_mov_b32_e32 v22, v1
	v_pk_mul_f32 v[12:13], v[8:9], v[22:23]
	v_mov_b32_e32 v9, v0
	v_mov_b32_e32 v8, v12
	;; [unrolled: 1-line block ×3, first 2 shown]
	v_pk_add_f32 v[0:1], v[8:9], v[0:1] neg_lo:[0,1] neg_hi:[0,1]
	s_nop 0
	v_div_scale_f32 v4, s[16:17], v99, v99, v1
	v_rcp_f32_e32 v8, v4
	s_nop 0
	v_fma_f32 v9, -v4, v8, 1.0
	v_fmac_f32_e32 v8, v9, v8
	v_div_scale_f32 v9, vcc, v1, v99, v1
	v_mul_f32_e32 v12, v9, v8
	v_fma_f32 v17, -v4, v12, v9
	v_fmac_f32_e32 v12, v17, v8
	v_fma_f32 v4, -v4, v12, v9
	v_div_fmas_f32 v4, v4, v8, v12
	v_div_fixup_f32 v9, v4, v99, v1
	v_div_scale_f32 v1, s[16:17], v13, v13, v0
	v_rcp_f32_e32 v4, v1
	s_nop 0
	v_fma_f32 v8, -v1, v4, 1.0
	v_fmac_f32_e32 v4, v8, v4
	v_div_scale_f32 v8, vcc, v0, v13, v0
	v_mul_f32_e32 v12, v8, v4
	v_fma_f32 v17, -v1, v12, v8
	v_fmac_f32_e32 v12, v17, v4
	v_fma_f32 v1, -v1, v12, v8
	v_div_fmas_f32 v1, v1, v4, v12
	v_div_fixup_f32 v8, v1, v13, v0
	v_sub_f32_e32 v0, v5, v8
	v_sub_f32_e32 v5, v0, v9
.LBB0_165:
	s_or_b64 exec, exec, s[14:15]
                                        ; implicit-def: $vgpr4
                                        ; implicit-def: $vgpr0
.LBB0_166:
	s_andn2_saveexec_b64 s[12:13], s[12:13]
	s_cbranch_execz .LBB0_168
; %bb.167:
	v_mov_b32_e32 v1, 0x2fb22351
	v_mul_f32_e32 v5, 0xbfb8aa3b, v0
	v_fmac_f32_e32 v1, 0xade6db4a, v4
	s_mov_b32 s14, 0xbfb8aa3b
	v_rndne_f32_e32 v6, v5
	v_fmaak_f32 v1, v4, v1, 0xb1786b26
	v_sub_f32_e32 v7, v5, v6
	v_fma_f32 v5, v0, s14, -v5
	v_fmaak_f32 v1, v4, v1, 0x33218076
	v_fmamk_f32 v5, v0, 0xb2a5705f, v5
	v_fmaak_f32 v1, v4, v1, 0xb4bec7bc
	v_add_f32_e32 v5, v7, v5
	v_fmaak_f32 v1, v4, v1, 0x364ad720
	v_exp_f32_e32 v5, v5
	v_cvt_i32_f32_e32 v6, v6
	v_fmaak_f32 v1, v4, v1, 0xb7c01b80
	v_fmaak_f32 v1, v4, v1, 0x392011ae
	;; [unrolled: 1-line block ×3, first 2 shown]
	s_mov_b32 s14, 0x42ce8ed0
	v_fmaak_f32 v1, v4, v1, 0x3b8df41e
	v_ldexp_f32 v5, v5, v6
	v_cmp_nlt_f32_e32 vcc, s14, v0
	s_mov_b32 s14, 0xc2b17218
	v_fmaak_f32 v1, v4, v1, 0xbc8f923b
	v_cndmask_b32_e32 v5, 0, v5, vcc
	v_mov_b32_e32 v6, 0x7f800000
	v_cmp_ngt_f32_e32 vcc, s14, v0
	v_mul_f32_e32 v1, v4, v1
	v_add_f32_e32 v12, v0, v0
	v_cndmask_b32_e32 v5, v6, v5, vcc
	v_mov_b32_e32 v7, 0x30158db2
	s_mov_b32 s14, 0x2c90ce0a
	v_mov_b32_e32 v0, 0x2e9c54b0
	v_fmac_f32_e32 v7, 0xaf4685e4, v4
	v_mov_b32_e32 v6, 0x2c90ce0a
	v_pk_fma_f32 v[8:9], v[4:5], s[14:15], v[0:1] neg_lo:[1,0,0] neg_hi:[1,0,0]
	s_mov_b32 s15, 0x3289bd4b
	v_pk_fma_f32 v[6:7], v[4:5], v[6:7], s[14:15] op_sel_hi:[0,1,1]
	s_mov_b32 s14, 0xb0ee7801
	v_mov_b32_e32 v9, v7
	s_mov_b32 s15, 0xb420d855
	v_pk_fma_f32 v[6:7], v[4:5], v[8:9], s[14:15] op_sel_hi:[0,1,1]
	s_mov_b32 s14, 0x337eb864
	s_mov_b32 s15, 0xb53c5c79
	v_pk_fma_f32 v[6:7], v[4:5], v[6:7], s[14:15] op_sel_hi:[0,1,1]
	s_mov_b32 s14, 0xb583020c
	s_mov_b32 s15, 0x379bedff
	v_pk_fma_f32 v[6:7], v[4:5], v[6:7], s[14:15] op_sel_hi:[0,1,1]
	s_mov_b32 s14, 0x373601b0
	s_mov_b32 s15, 0xb7abb3dc
	v_pk_fma_f32 v[6:7], v[4:5], v[6:7], s[14:15] op_sel_hi:[0,1,1]
	s_mov_b32 s14, 0xb8ec27f6
	s_mov_b32 s15, 0xbb236640
	v_pk_fma_f32 v[6:7], v[4:5], v[6:7], s[14:15] op_sel_hi:[0,1,1]
	s_mov_b32 s14, 0x3a9851e9
	s_mov_b32 s15, 0x3d120b0d
	v_pk_fma_f32 v[6:7], v[4:5], v[6:7], s[14:15] op_sel_hi:[0,1,1]
	s_mov_b32 s14, 0xbc2221af
	s_mov_b32 s15, 0xbe85556f
	v_pk_fma_f32 v[6:7], v[4:5], v[6:7], s[14:15] op_sel_hi:[0,1,1]
	s_mov_b32 s14, 0x3d7aeab0
	s_mov_b32 s15, 0x3f8f8f0b
	v_pk_fma_f32 v[6:7], v[4:5], v[6:7], s[14:15] op_sel_hi:[0,1,1]
	s_mov_b32 s14, 1.0
	v_mov_b32_e32 v0, v7
	s_mov_b32 s15, 0x3d586f6b
	v_pk_add_f32 v[0:1], v[0:1], s[14:15]
	v_mov_b32_e32 v9, 0
	v_fmac_f32_e32 v5, v12, v1
	v_sub_f32_e32 v4, v1, v5
	v_fma_f32 v1, v6, v4, v1
	v_mul_f32_e32 v0, v0, v1
	v_sub_f32_e32 v1, v7, v6
	v_div_scale_f32 v4, s[14:15], v1, v1, v0
	v_rcp_f32_e32 v8, v4
	s_nop 0
	v_fma_f32 v12, -v4, v8, 1.0
	v_fmac_f32_e32 v8, v12, v8
	v_div_scale_f32 v12, vcc, v0, v1, v0
	v_mul_f32_e32 v13, v12, v8
	v_fma_f32 v16, -v4, v13, v12
	v_fmac_f32_e32 v13, v16, v8
	v_fma_f32 v4, -v4, v13, v12
	v_div_fmas_f32 v4, v4, v8, v13
	v_div_fixup_f32 v8, v4, v1, v0
	v_sub_f32_e32 v5, v5, v8
	v_mov_b32_e32 v16, 0
.LBB0_168:
	s_or_b64 exec, exec, s[12:13]
                                        ; implicit-def: $vgpr4
                                        ; implicit-def: $vgpr0
.LBB0_169:
	s_andn2_saveexec_b64 s[10:11], s[10:11]
	s_cbranch_execz .LBB0_173
; %bb.170:
	v_mov_b32_e32 v8, 0
	v_mov_b32_e32 v9, v8
	v_cmp_eq_u32_e32 vcc, 0, v32
	v_mov_b32_e32 v5, 0
	v_mov_b64_e32 v[6:7], v[8:9]
	s_and_saveexec_b64 s[12:13], vcc
	s_cbranch_execz .LBB0_172
; %bb.171:
	v_mov_b32_e32 v1, 0x2fb22351
	v_fmac_f32_e32 v1, 0xade6db4a, v4
	v_fmaak_f32 v1, v4, v1, 0xb1786b26
	v_fmaak_f32 v1, v4, v1, 0x33218076
	;; [unrolled: 1-line block ×9, first 2 shown]
	v_mul_f32_e32 v1, v4, v1
	v_mul_f32_e32 v4, 0xbfb8aa3b, v0
	s_mov_b32 s14, 0xbfb8aa3b
	v_rndne_f32_e32 v5, v4
	v_sub_f32_e32 v6, v4, v5
	v_fma_f32 v4, v0, s14, -v4
	v_fmamk_f32 v4, v0, 0xb2a5705f, v4
	v_add_f32_e32 v4, v6, v4
	v_exp_f32_e32 v9, v4
	v_cvt_i32_f32_e32 v12, v5
	v_mov_b32_e32 v5, 0x3d586f6b
	v_mov_b32_e32 v4, v0
	s_mov_b32 s14, 0x42ce8ed0
	v_pk_add_f32 v[6:7], v[0:1], v[4:5]
	v_ldexp_f32 v1, v9, v12
	v_cmp_nlt_f32_e32 vcc, s14, v0
	s_mov_b32 s14, 0xc2b17218
	v_mov_b32_e32 v4, 0x7f800000
	v_cndmask_b32_e32 v1, 0, v1, vcc
	v_cmp_ngt_f32_e32 vcc, s14, v0
	s_nop 1
	v_cndmask_b32_e32 v5, v4, v1, vcc
	v_fmac_f32_e32 v5, v6, v7
	v_sub_f32_e32 v0, v5, v7
	v_div_scale_f32 v1, s[14:15], v0, v0, v7
	v_rcp_f32_e32 v4, v1
	s_nop 0
	v_fma_f32 v6, -v1, v4, 1.0
	v_fmac_f32_e32 v4, v6, v4
	v_div_scale_f32 v6, vcc, v7, v0, v7
	v_mul_f32_e32 v9, v6, v4
	v_fma_f32 v12, -v1, v9, v6
	v_fmac_f32_e32 v9, v12, v4
	v_fma_f32 v1, -v1, v9, v6
	v_div_fmas_f32 v1, v1, v4, v9
	v_div_fixup_f32 v6, v1, v0, v7
	v_mov_b32_e32 v7, 0
.LBB0_172:
	s_or_b64 exec, exec, s[12:13]
	v_mov_b32_e32 v9, 0
	v_mov_b32_e32 v16, 0
.LBB0_173:
	s_or_b64 exec, exec, s[10:11]
	s_or_b64 exec, exec, s[0:1]
                                        ; implicit-def: $vgpr0
.LBB0_174:
	s_andn2_saveexec_b64 s[0:1], s[8:9]
	s_cbranch_execz .LBB0_467
.LBB0_175:
	v_add_f32_e32 v4, -2.0, v0
	v_cmp_lt_i32_e32 vcc, 0, v32
                                        ; implicit-def: $vgpr8
                                        ; implicit-def: $vgpr5
                                        ; implicit-def: $vgpr6_vgpr7
                                        ; implicit-def: $vgpr16
	s_and_saveexec_b64 s[8:9], vcc
	s_xor_b64 s[8:9], exec, s[8:9]
	s_cbranch_execz .LBB0_183
; %bb.176:
	v_cmp_lt_i32_e32 vcc, 1, v32
                                        ; implicit-def: $vgpr8
                                        ; implicit-def: $vgpr5
                                        ; implicit-def: $vgpr6_vgpr7
                                        ; implicit-def: $vgpr16
	s_and_saveexec_b64 s[10:11], vcc
	s_xor_b64 s[10:11], exec, s[10:11]
	s_cbranch_execz .LBB0_180
; %bb.177:
	v_mov_b32_e32 v8, 0
	v_mov_b32_e32 v9, v8
	v_cmp_eq_u32_e32 vcc, 2, v32
	v_mov_b32_e32 v5, v8
	v_mov_b64_e32 v[6:7], v[8:9]
	v_mov_b32_e32 v16, v8
	s_and_saveexec_b64 s[12:13], vcc
	s_cbranch_execz .LBB0_179
; %bb.178:
	v_mov_b32_e32 v1, 0x31781e01
	v_fmac_f32_e32 v1, 0xaf9ac11f, v4
	v_fmaak_f32 v1, v4, v1, 0x3342d558
	v_fmaak_f32 v1, v4, v1, 0xb4175e0b
	v_mov_b32_e32 v6, 0x2caabff3
	s_mov_b32 s14, 0xb0341271
	v_fmaak_f32 v1, v4, v1, 0xb6cb4b75
	v_fmac_f32_e32 v6, 0x2bcba156, v4
	v_mov_b32_e32 v7, 0x303f4e21
	s_mov_b32 s15, 0xb1b7ebe3
	v_fmaak_f32 v1, v4, v1, 0xb8586938
	v_pk_fma_f32 v[6:7], v[4:5], v[6:7], s[14:15] op_sel_hi:[0,1,1]
	s_mov_b32 s14, 0x32868327
	v_fmaak_f32 v1, v4, v1, 0x380c68c0
	s_mov_b32 s15, 0xb390da29
	v_fmaak_f32 v1, v4, v1, 0x3d4ecb90
	v_pk_fma_f32 v[6:7], v[4:5], v[6:7], s[14:15] op_sel_hi:[0,1,1]
	s_mov_b32 s14, 0xb48ba6f7
	v_fmaak_f32 v1, v4, v1, 0xbf532020
	s_mov_b32 s15, 0x35c9a4ee
	v_fmaak_f32 v16, v4, v1, 0x4099febe
	v_mov_b32_e32 v1, 0x30f4db6f
	v_pk_fma_f32 v[6:7], v[4:5], v[6:7], s[14:15] op_sel_hi:[0,1,1]
	s_mov_b32 s14, 0x36818f53
	v_fmac_f32_e32 v1, 0xaf22c6bf, v4
	s_mov_b32 s15, 0x3585304b
	v_fmaak_f32 v1, v4, v1, 0xb2a55e4f
	v_pk_fma_f32 v[6:7], v[4:5], v[6:7], s[14:15] op_sel_hi:[0,1,1]
	s_mov_b32 s14, 0xb857593b
	v_fmaak_f32 v1, v4, v1, 0x344f05bc
	s_mov_b32 s15, 0xb9cc067d
	v_fmaak_f32 v1, v4, v1, 0xb5e9477a
	v_pk_fma_f32 v[6:7], v[4:5], v[6:7], s[14:15] op_sel_hi:[0,1,1]
	s_mov_b32 s14, 0x3a1e1fb3
	v_fmaak_f32 v1, v4, v1, 0x376987df
	;; [unrolled: 5-line block ×4, first 2 shown]
	s_mov_b32 s15, 0x3f12ecf6
	v_fmaak_f32 v1, v4, v1, 0xbd047be0
	v_pk_fma_f32 v[6:7], v[4:5], v[6:7], s[14:15] op_sel_hi:[0,1,1]
	v_mul_f32_e32 v1, v4, v1
	v_mul_f32_e32 v4, 0xbfb8aa3b, v0
	s_mov_b32 s14, 0xbfb8aa3b
	v_rndne_f32_e32 v5, v4
	v_sub_f32_e32 v8, v4, v5
	v_fma_f32 v4, v0, s14, -v4
	v_fmamk_f32 v4, v0, 0xb2a5705f, v4
	v_add_f32_e32 v4, v8, v4
	v_exp_f32_e32 v4, v4
	v_cvt_i32_f32_e32 v5, v5
	s_mov_b32 s14, 0x42ce8ed0
	v_cmp_nlt_f32_e32 vcc, s14, v0
	s_mov_b32 s14, 0xc2b17218
	v_ldexp_f32 v4, v4, v5
	v_cndmask_b32_e32 v4, 0, v4, vcc
	v_cmp_ngt_f32_e32 vcc, s14, v0
	v_mov_b32_e32 v5, 0x7f800000
	s_mov_b32 s16, 0x40400000
	v_cndmask_b32_e32 v5, v5, v4, vcc
	v_add_f32_e32 v4, 1.0, v16
	v_div_scale_f32 v8, s[14:15], v4, v4, v16
	v_rcp_f32_e32 v9, v8
	s_nop 0
	v_fma_f32 v12, -v8, v9, 1.0
	v_fmac_f32_e32 v9, v12, v9
	v_div_scale_f32 v12, vcc, v16, v4, v16
	v_mul_f32_e32 v13, v12, v9
	v_fma_f32 v17, -v8, v13, v12
	v_fmac_f32_e32 v13, v17, v9
	v_fma_f32 v8, -v8, v13, v12
	v_div_fmas_f32 v8, v8, v9, v13
	v_mov_b32_e32 v13, 0x3d58da91
	v_mov_b32_e32 v12, v0
	v_pk_add_f32 v[0:1], v[0:1], v[12:13]
	v_div_fixup_f32 v8, v8, v4, v16
	v_fma_f32 v4, v0, v1, v5
	v_div_scale_f32 v9, s[14:15], s16, s16, v4
	v_rcp_f32_e32 v12, v9
	s_nop 0
	v_fma_f32 v13, -v9, v12, 1.0
	v_fmac_f32_e32 v12, v13, v12
	v_div_scale_f32 v13, vcc, v4, s16, v4
	v_mul_f32_e32 v17, v13, v12
	v_fma_f32 v20, -v9, v17, v13
	v_fmac_f32_e32 v17, v20, v12
	v_fma_f32 v9, -v9, v17, v13
	v_div_fmas_f32 v9, v9, v12, v17
	v_pk_add_f32 v[12:13], v[6:7], 1.0 op_sel_hi:[1,0]
	v_div_fixup_f32 v4, v9, s16, v4
	v_div_scale_f32 v9, s[14:15], v13, v13, v7
	v_rcp_f32_e32 v17, v9
	v_fmac_f32_e32 v5, v0, v4
	v_mov_b32_e32 v0, v1
	v_mov_b32_e32 v1, v4
	v_fma_f32 v20, -v9, v17, 1.0
	v_fmac_f32_e32 v17, v20, v17
	v_div_scale_f32 v20, vcc, v7, v13, v7
	v_mul_f32_e32 v21, v20, v17
	v_fma_f32 v22, -v9, v21, v20
	v_fmac_f32_e32 v21, v22, v17
	v_fma_f32 v9, -v9, v21, v20
	v_div_fmas_f32 v9, v9, v17, v21
	v_div_fixup_f32 v13, v9, v13, v7
	v_div_scale_f32 v9, s[14:15], v12, v12, v6
	v_rcp_f32_e32 v17, v9
	s_nop 0
	v_fma_f32 v20, -v9, v17, 1.0
	v_fmac_f32_e32 v17, v20, v17
	v_div_scale_f32 v20, vcc, v6, v12, v6
	v_mul_f32_e32 v21, v20, v17
	v_fma_f32 v22, -v9, v21, v20
	v_fmac_f32_e32 v21, v22, v17
	v_fma_f32 v9, -v9, v21, v20
	v_div_fmas_f32 v9, v9, v17, v21
	v_div_fixup_f32 v12, v9, v12, v6
	v_pk_fma_f32 v[0:1], v[12:13], v[4:5], v[0:1] op_sel_hi:[0,1,1] neg_lo:[1,0,0] neg_hi:[1,0,0]
	v_pk_add_f32 v[22:23], v[8:9], v[12:13] op_sel_hi:[0,1] neg_lo:[0,1] neg_hi:[0,1]
	v_mov_b32_e32 v9, v12
	v_pk_mul_f32 v[20:21], v[12:13], v[0:1]
	v_pk_add_f32 v[12:13], v[12:13], v[8:9] neg_lo:[0,1] neg_hi:[0,1]
	v_pk_mul_f32 v[98:99], v[22:23], v[22:23] op_sel_hi:[1,0]
	v_mov_b32_e32 v9, v13
	v_mov_b32_e32 v22, v1
	v_pk_mul_f32 v[12:13], v[8:9], v[22:23]
	v_mov_b32_e32 v9, v0
	v_mov_b32_e32 v8, v12
	;; [unrolled: 1-line block ×3, first 2 shown]
	v_pk_add_f32 v[0:1], v[8:9], v[0:1] neg_lo:[0,1] neg_hi:[0,1]
	s_nop 0
	v_div_scale_f32 v4, s[14:15], v99, v99, v1
	v_rcp_f32_e32 v8, v4
	s_nop 0
	v_fma_f32 v9, -v4, v8, 1.0
	v_fmac_f32_e32 v8, v9, v8
	v_div_scale_f32 v9, vcc, v1, v99, v1
	v_mul_f32_e32 v12, v9, v8
	v_fma_f32 v17, -v4, v12, v9
	v_fmac_f32_e32 v12, v17, v8
	v_fma_f32 v4, -v4, v12, v9
	v_div_fmas_f32 v4, v4, v8, v12
	v_div_fixup_f32 v9, v4, v99, v1
	v_div_scale_f32 v1, s[14:15], v13, v13, v0
	v_rcp_f32_e32 v4, v1
	s_nop 0
	v_fma_f32 v8, -v1, v4, 1.0
	v_fmac_f32_e32 v4, v8, v4
	v_div_scale_f32 v8, vcc, v0, v13, v0
	v_mul_f32_e32 v12, v8, v4
	v_fma_f32 v17, -v1, v12, v8
	v_fmac_f32_e32 v12, v17, v4
	v_fma_f32 v1, -v1, v12, v8
	v_div_fmas_f32 v1, v1, v4, v12
	v_div_fixup_f32 v8, v1, v13, v0
	v_sub_f32_e32 v0, v5, v8
	v_sub_f32_e32 v5, v0, v9
.LBB0_179:
	s_or_b64 exec, exec, s[12:13]
                                        ; implicit-def: $vgpr4
                                        ; implicit-def: $vgpr0
.LBB0_180:
	s_andn2_saveexec_b64 s[10:11], s[10:11]
	s_cbranch_execz .LBB0_182
; %bb.181:
	v_mov_b32_e32 v1, 0x3106d68d
	v_mul_f32_e32 v5, 0xbfb8aa3b, v0
	v_fmac_f32_e32 v1, 0xaf31cb49, v4
	s_mov_b32 s12, 0xbfb8aa3b
	v_rndne_f32_e32 v6, v5
	v_fmaak_f32 v1, v4, v1, 0xb2b806a8
	v_sub_f32_e32 v7, v5, v6
	v_fma_f32 v5, v0, s12, -v5
	v_fmaak_f32 v1, v4, v1, 0x34693c08
	v_fmamk_f32 v5, v0, 0xb2a5705f, v5
	v_fmaak_f32 v1, v4, v1, 0xb6057233
	v_add_f32_e32 v5, v7, v5
	v_fmaak_f32 v1, v4, v1, 0x3788416e
	v_exp_f32_e32 v5, v5
	v_cvt_i32_f32_e32 v6, v6
	v_fmaak_f32 v1, v4, v1, 0xb8f4d278
	v_fmaak_f32 v1, v4, v1, 0x3a3e0676
	;; [unrolled: 1-line block ×3, first 2 shown]
	s_mov_b32 s12, 0x42ce8ed0
	v_fmaak_f32 v1, v4, v1, 0x3c847be0
	v_ldexp_f32 v5, v5, v6
	v_cmp_nlt_f32_e32 vcc, s12, v0
	s_mov_b32 s12, 0xc2b17218
	v_fmaak_f32 v1, v4, v1, 0xbd58da91
	v_cndmask_b32_e32 v5, 0, v5, vcc
	v_cmp_ngt_f32_e32 vcc, s12, v0
	s_mov_b32 s12, 0x2ce01337
	v_mul_f32_e32 v1, v4, v1
	v_add_f32_e32 v12, v0, v0
	v_mov_b32_e32 v6, 0x7f800000
	s_mov_b32 s13, 0x2f1fcb23
	v_mov_b32_e32 v0, 0x2eba5957
	v_cndmask_b32_e32 v13, v6, v5, vcc
	v_pk_fma_f32 v[6:7], v[4:5], s[12:13], v[0:1] neg_lo:[1,0,0] neg_hi:[1,0,0]
	v_mov_b32_e32 v5, 0x310e536f
	v_pk_fma_f32 v[8:9], v[4:5], s[12:13], v[4:5] op_sel_hi:[0,1,1]
	s_mov_b32 s12, 0xb00d9f71
	v_mov_b32_e32 v7, v9
	s_mov_b32 s13, 0xb2a165e8
	v_pk_fma_f32 v[6:7], v[4:5], v[6:7], s[12:13] op_sel_hi:[0,1,1]
	s_mov_b32 s12, 0xafd37520
	s_mov_b32 s13, 0xb4394f7d
	v_pk_fma_f32 v[6:7], v[4:5], v[6:7], s[12:13] op_sel_hi:[0,1,1]
	s_mov_b32 s12, 0x33b5f0b5
	;; [unrolled: 3-line block ×8, first 2 shown]
	s_mov_b32 s13, 0x3fe6e9cb
	v_pk_fma_f32 v[6:7], v[4:5], v[6:7], s[12:13] op_sel_hi:[0,1,1]
	s_mov_b32 s12, 1.0
	v_mov_b32_e32 v0, v7
	s_mov_b32 s13, 0x3decf544
	v_pk_add_f32 v[0:1], v[0:1], s[12:13]
	v_mov_b32_e32 v9, 0
	v_fmac_f32_e32 v13, v12, v1
	v_sub_f32_e32 v4, v1, v13
	v_fma_f32 v1, v6, v4, v1
	v_mul_f32_e32 v0, v0, v1
	v_sub_f32_e32 v1, v7, v6
	v_div_scale_f32 v4, s[12:13], v1, v1, v0
	v_rcp_f32_e32 v5, v4
	s_nop 0
	v_fma_f32 v8, -v4, v5, 1.0
	v_fmac_f32_e32 v5, v8, v5
	v_div_scale_f32 v8, vcc, v0, v1, v0
	v_mul_f32_e32 v12, v8, v5
	v_fma_f32 v16, -v4, v12, v8
	v_fmac_f32_e32 v12, v16, v5
	v_fma_f32 v4, -v4, v12, v8
	v_div_fmas_f32 v4, v4, v5, v12
	v_div_fixup_f32 v8, v4, v1, v0
	v_sub_f32_e32 v5, v13, v8
	v_mov_b32_e32 v16, 0
.LBB0_182:
	s_or_b64 exec, exec, s[10:11]
                                        ; implicit-def: $vgpr4
                                        ; implicit-def: $vgpr0
.LBB0_183:
	s_andn2_saveexec_b64 s[8:9], s[8:9]
	s_cbranch_execz .LBB0_187
; %bb.184:
	v_mov_b32_e32 v8, 0
	v_mov_b32_e32 v9, v8
	v_cmp_eq_u32_e32 vcc, 0, v32
	v_mov_b32_e32 v5, 0
	v_mov_b64_e32 v[6:7], v[8:9]
	s_and_saveexec_b64 s[10:11], vcc
	s_cbranch_execz .LBB0_186
; %bb.185:
	v_mov_b32_e32 v1, 0x3106d68d
	v_fmac_f32_e32 v1, 0xaf31cb49, v4
	v_fmaak_f32 v1, v4, v1, 0xb2b806a8
	v_fmaak_f32 v1, v4, v1, 0x34693c08
	;; [unrolled: 1-line block ×9, first 2 shown]
	v_mul_f32_e32 v1, v4, v1
	v_mul_f32_e32 v4, 0xbfb8aa3b, v0
	s_mov_b32 s12, 0xbfb8aa3b
	v_rndne_f32_e32 v5, v4
	v_sub_f32_e32 v6, v4, v5
	v_fma_f32 v4, v0, s12, -v4
	v_fmamk_f32 v4, v0, 0xb2a5705f, v4
	v_add_f32_e32 v4, v6, v4
	v_exp_f32_e32 v9, v4
	v_cvt_i32_f32_e32 v12, v5
	v_mov_b32_e32 v5, 0x3decf544
	v_mov_b32_e32 v4, v0
	s_mov_b32 s12, 0x42ce8ed0
	v_pk_add_f32 v[6:7], v[0:1], v[4:5]
	v_ldexp_f32 v1, v9, v12
	v_cmp_nlt_f32_e32 vcc, s12, v0
	s_mov_b32 s12, 0xc2b17218
	v_mov_b32_e32 v4, 0x7f800000
	v_cndmask_b32_e32 v1, 0, v1, vcc
	v_cmp_ngt_f32_e32 vcc, s12, v0
	s_nop 1
	v_cndmask_b32_e32 v5, v4, v1, vcc
	v_fmac_f32_e32 v5, v6, v7
	v_sub_f32_e32 v0, v5, v7
	v_div_scale_f32 v1, s[12:13], v0, v0, v7
	v_rcp_f32_e32 v4, v1
	s_nop 0
	v_fma_f32 v6, -v1, v4, 1.0
	v_fmac_f32_e32 v4, v6, v4
	v_div_scale_f32 v6, vcc, v7, v0, v7
	v_mul_f32_e32 v9, v6, v4
	v_fma_f32 v12, -v1, v9, v6
	v_fmac_f32_e32 v9, v12, v4
	v_fma_f32 v1, -v1, v9, v6
	v_div_fmas_f32 v1, v1, v4, v9
	v_div_fixup_f32 v6, v1, v0, v7
	v_mov_b32_e32 v7, 0
.LBB0_186:
	s_or_b64 exec, exec, s[10:11]
	v_mov_b32_e32 v9, 0
	v_mov_b32_e32 v16, 0
.LBB0_187:
	s_or_b64 exec, exec, s[8:9]
	s_or_b64 exec, exec, s[0:1]
                                        ; implicit-def: $vgpr0
.LBB0_188:
	s_andn2_saveexec_b64 s[0:1], s[6:7]
	s_cbranch_execz .LBB0_468
.LBB0_189:
	v_cmp_lt_i32_e32 vcc, 0, v32
                                        ; implicit-def: $vgpr8
                                        ; implicit-def: $vgpr5
                                        ; implicit-def: $vgpr6_vgpr7
                                        ; implicit-def: $vgpr16
	s_and_saveexec_b64 s[6:7], vcc
	s_xor_b64 s[6:7], exec, s[6:7]
	s_cbranch_execz .LBB0_197
; %bb.190:
	v_cmp_lt_i32_e32 vcc, 1, v32
                                        ; implicit-def: $vgpr8
                                        ; implicit-def: $vgpr5
                                        ; implicit-def: $vgpr6_vgpr7
                                        ; implicit-def: $vgpr16
	s_and_saveexec_b64 s[8:9], vcc
	s_xor_b64 s[8:9], exec, s[8:9]
	s_cbranch_execz .LBB0_194
; %bb.191:
	v_mov_b32_e32 v8, 0
	v_mov_b32_e32 v9, v8
	v_cmp_eq_u32_e32 vcc, 2, v32
	v_mov_b32_e32 v5, v8
	v_mov_b64_e32 v[6:7], v[8:9]
	v_mov_b32_e32 v16, v8
	s_and_saveexec_b64 s[10:11], vcc
	s_cbranch_execz .LBB0_193
; %bb.192:
	s_mov_b32 s12, 0xb00c3d32
	s_mov_b32 s13, 0xb25ebb25
	v_mov_b32_e32 v4, 0x32ce461e
	v_mov_b32_e32 v5, 0x33a65836
	v_pk_fma_f32 v[4:5], v[0:1], s[12:13], v[4:5] op_sel_hi:[0,1,1]
	s_mov_b32 s12, 0xb5068207
	s_mov_b32 s13, 0x35d16908
	v_pk_fma_f32 v[4:5], v[0:1], v[4:5], s[12:13] op_sel_hi:[0,1,1]
	s_mov_b32 s12, 0x36fe70ba
	s_mov_b32 s13, 0xb7849568
	;; [unrolled: 3-line block ×6, first 2 shown]
	v_pk_fma_f32 v[6:7], v[0:1], v[4:5], s[12:13] op_sel_hi:[0,1,1]
	v_mul_f32_e32 v4, 0xbfb8aa3b, v0
	s_mov_b32 s12, 0xbfb8aa3b
	v_rndne_f32_e32 v5, v4
	v_sub_f32_e32 v8, v4, v5
	v_fma_f32 v4, v0, s12, -v4
	v_mov_b32_e32 v1, 0xb4a28ea1
	v_fmamk_f32 v4, v0, 0xb2a5705f, v4
	v_fmac_f32_e32 v1, 0xb21f8577, v0
	v_add_f32_e32 v4, v8, v4
	v_fmaak_f32 v1, v0, v1, 0xb62843db
	v_exp_f32_e32 v4, v4
	v_cvt_i32_f32_e32 v5, v5
	v_fmaak_f32 v1, v0, v1, 0xb6f5dcde
	v_fmaak_f32 v1, v0, v1, 0x39800a51
	;; [unrolled: 1-line block ×3, first 2 shown]
	s_mov_b32 s12, 0x42ce8ed0
	v_fmaak_f32 v1, v0, v1, 0xbf8334b6
	v_ldexp_f32 v4, v4, v5
	v_cmp_nlt_f32_e32 vcc, s12, v0
	s_mov_b32 s12, 0xc2b17218
	v_fmaak_f32 v16, v0, v1, 0x40d535a8
	v_cndmask_b32_e32 v4, 0, v4, vcc
	v_cmp_ngt_f32_e32 vcc, s12, v0
	v_mov_b32_e32 v5, 0x7f800000
	v_mov_b32_e32 v1, 0x35930a14
	v_cndmask_b32_e32 v5, v5, v4, vcc
	v_add_f32_e32 v4, 1.0, v16
	v_div_scale_f32 v8, s[12:13], v4, v4, v16
	v_rcp_f32_e32 v9, v8
	v_fmac_f32_e32 v1, 0xb3a3678d, v0
	v_fmaak_f32 v1, v0, v1, 0xb72d9523
	v_fmaak_f32 v1, v0, v1, 0x38ab321b
	v_fma_f32 v12, -v8, v9, 1.0
	v_fmaak_f32 v1, v0, v1, 0xba11a0c3
	v_fmac_f32_e32 v9, v12, v9
	v_div_scale_f32 v12, vcc, v16, v4, v16
	v_fmaak_f32 v1, v0, v1, 0x3b520d00
	v_mul_f32_e32 v13, v12, v9
	v_fmaak_f32 v1, v0, v1, 0xbc783e0e
	v_fma_f32 v17, -v8, v13, v12
	v_fmaak_f32 v1, v0, v1, 0x3d638e39
	v_fmac_f32_e32 v13, v17, v9
	v_fmaak_f32 v1, v0, v1, 0xbe124925
	v_fma_f32 v8, -v8, v13, v12
	v_mul_f32_e32 v1, v0, v1
	v_div_fmas_f32 v8, v8, v9, v13
	v_mov_b32_e32 v13, 0x3e4ccccd
	v_mov_b32_e32 v12, v0
	v_pk_add_f32 v[0:1], v[0:1], v[12:13]
	v_div_fixup_f32 v8, v8, v4, v16
	v_fma_f32 v4, v0, v1, v5
	s_mov_b32 s14, 0x40400000
	v_div_scale_f32 v9, s[12:13], s14, s14, v4
	v_rcp_f32_e32 v12, v9
	s_nop 0
	v_fma_f32 v13, -v9, v12, 1.0
	v_fmac_f32_e32 v12, v13, v12
	v_div_scale_f32 v13, vcc, v4, s14, v4
	v_mul_f32_e32 v17, v13, v12
	v_fma_f32 v20, -v9, v17, v13
	v_fmac_f32_e32 v17, v20, v12
	v_fma_f32 v9, -v9, v17, v13
	v_div_fmas_f32 v9, v9, v12, v17
	v_pk_add_f32 v[12:13], v[6:7], 1.0 op_sel_hi:[1,0]
	v_div_fixup_f32 v4, v9, s14, v4
	v_div_scale_f32 v9, s[12:13], v13, v13, v7
	v_rcp_f32_e32 v17, v9
	v_fmac_f32_e32 v5, v0, v4
	v_mov_b32_e32 v0, v1
	v_mov_b32_e32 v1, v4
	v_fma_f32 v20, -v9, v17, 1.0
	v_fmac_f32_e32 v17, v20, v17
	v_div_scale_f32 v20, vcc, v7, v13, v7
	v_mul_f32_e32 v21, v20, v17
	v_fma_f32 v22, -v9, v21, v20
	v_fmac_f32_e32 v21, v22, v17
	v_fma_f32 v9, -v9, v21, v20
	v_div_fmas_f32 v9, v9, v17, v21
	v_div_fixup_f32 v13, v9, v13, v7
	v_div_scale_f32 v9, s[12:13], v12, v12, v6
	v_rcp_f32_e32 v17, v9
	s_nop 0
	v_fma_f32 v20, -v9, v17, 1.0
	v_fmac_f32_e32 v17, v20, v17
	v_div_scale_f32 v20, vcc, v6, v12, v6
	v_mul_f32_e32 v21, v20, v17
	v_fma_f32 v22, -v9, v21, v20
	v_fmac_f32_e32 v21, v22, v17
	v_fma_f32 v9, -v9, v21, v20
	v_div_fmas_f32 v9, v9, v17, v21
	v_div_fixup_f32 v12, v9, v12, v6
	v_pk_fma_f32 v[0:1], v[12:13], v[4:5], v[0:1] op_sel_hi:[0,1,1] neg_lo:[1,0,0] neg_hi:[1,0,0]
	v_pk_add_f32 v[22:23], v[8:9], v[12:13] op_sel_hi:[0,1] neg_lo:[0,1] neg_hi:[0,1]
	v_mov_b32_e32 v9, v12
	v_pk_mul_f32 v[20:21], v[12:13], v[0:1]
	v_pk_add_f32 v[12:13], v[12:13], v[8:9] neg_lo:[0,1] neg_hi:[0,1]
	v_pk_mul_f32 v[98:99], v[22:23], v[22:23] op_sel_hi:[1,0]
	v_mov_b32_e32 v9, v13
	v_mov_b32_e32 v22, v1
	v_pk_mul_f32 v[12:13], v[8:9], v[22:23]
	v_mov_b32_e32 v9, v0
	v_mov_b32_e32 v8, v12
	;; [unrolled: 1-line block ×3, first 2 shown]
	v_pk_add_f32 v[0:1], v[8:9], v[0:1] neg_lo:[0,1] neg_hi:[0,1]
	s_nop 0
	v_div_scale_f32 v4, s[12:13], v99, v99, v1
	v_rcp_f32_e32 v8, v4
	s_nop 0
	v_fma_f32 v9, -v4, v8, 1.0
	v_fmac_f32_e32 v8, v9, v8
	v_div_scale_f32 v9, vcc, v1, v99, v1
	v_mul_f32_e32 v12, v9, v8
	v_fma_f32 v17, -v4, v12, v9
	v_fmac_f32_e32 v12, v17, v8
	v_fma_f32 v4, -v4, v12, v9
	v_div_fmas_f32 v4, v4, v8, v12
	v_div_fixup_f32 v9, v4, v99, v1
	v_div_scale_f32 v1, s[12:13], v13, v13, v0
	v_rcp_f32_e32 v4, v1
	s_nop 0
	v_fma_f32 v8, -v1, v4, 1.0
	v_fmac_f32_e32 v4, v8, v4
	v_div_scale_f32 v8, vcc, v0, v13, v0
	v_mul_f32_e32 v12, v8, v4
	v_fma_f32 v17, -v1, v12, v8
	v_fmac_f32_e32 v12, v17, v4
	v_fma_f32 v1, -v1, v12, v8
	v_div_fmas_f32 v1, v1, v4, v12
	v_div_fixup_f32 v8, v1, v13, v0
	v_sub_f32_e32 v0, v5, v8
	v_sub_f32_e32 v5, v0, v9
.LBB0_193:
	s_or_b64 exec, exec, s[10:11]
                                        ; implicit-def: $vgpr0
.LBB0_194:
	s_andn2_saveexec_b64 s[8:9], s[8:9]
	s_cbranch_execz .LBB0_196
; %bb.195:
	v_mul_f32_e32 v4, 0xbfb8aa3b, v0
	s_mov_b32 s10, 0xbfb8aa3b
	v_rndne_f32_e32 v5, v4
	v_mov_b32_e32 v1, 0x35a2b3c5
	v_sub_f32_e32 v6, v4, v5
	v_fma_f32 v4, v0, s10, -v4
	v_fmac_f32_e32 v1, 0xb3b398d8, v0
	v_fmamk_f32 v4, v0, 0xb2a5705f, v4
	v_fmaak_f32 v1, v0, v1, 0xb7420cb6
	v_add_f32_e32 v4, v6, v4
	v_fmaak_f32 v1, v0, v1, 0x38c20728
	v_exp_f32_e32 v4, v4
	v_cvt_i32_f32_e32 v5, v5
	v_fmaak_f32 v1, v0, v1, 0xba280863
	v_fmaak_f32 v1, v0, v1, 0x3b783dec
	;; [unrolled: 1-line block ×3, first 2 shown]
	s_mov_b32 s10, 0x42ce8ed0
	v_fmaak_f32 v1, v0, v1, 0x3d924925
	v_ldexp_f32 v4, v4, v5
	v_cmp_nlt_f32_e32 vcc, s10, v0
	s_mov_b32 s10, 0xc2b17218
	v_fmaak_f32 v1, v0, v1, 0xbe4ccccd
	v_cndmask_b32_e32 v4, 0, v4, vcc
	v_mov_b32_e32 v5, 0x7f800000
	v_cmp_ngt_f32_e32 vcc, s10, v0
	s_mov_b32 s10, 0xb121a6de
	v_mul_f32_e32 v1, v0, v1
	v_cndmask_b32_e32 v12, v5, v4, vcc
	s_mov_b32 s11, 0xb2d484ea
	v_mov_b32_e32 v4, 0x32d609dd
	v_mov_b32_e32 v5, 0x347e45d0
	v_pk_fma_f32 v[4:5], v[0:1], s[10:11], v[4:5] op_sel_hi:[0,1,1]
	s_mov_b32 s10, 0xb343c735
	s_mov_b32 s11, 0x35f656c1
	v_pk_fma_f32 v[4:5], v[0:1], v[4:5], s[10:11] op_sel_hi:[0,1,1]
	s_mov_b32 s10, 0xb6243b79
	s_mov_b32 s11, 0xb7ad52a3
	;; [unrolled: 3-line block ×7, first 2 shown]
	v_pk_fma_f32 v[6:7], v[0:1], v[4:5], s[10:11] op_sel_hi:[0,1,1]
	s_mov_b32 s10, 1.0
	v_add_f32_e32 v8, v0, v0
	v_mov_b32_e32 v0, v7
	s_mov_b32 s11, 0x3eaaaaab
	v_pk_add_f32 v[0:1], v[0:1], s[10:11]
	v_mov_b32_e32 v9, 0
	v_fmac_f32_e32 v12, v8, v1
	v_sub_f32_e32 v4, v1, v12
	v_fma_f32 v1, v6, v4, v1
	v_mul_f32_e32 v0, v0, v1
	v_sub_f32_e32 v1, v7, v6
	v_div_scale_f32 v4, s[10:11], v1, v1, v0
	v_rcp_f32_e32 v5, v4
	s_nop 0
	v_fma_f32 v8, -v4, v5, 1.0
	v_fmac_f32_e32 v5, v8, v5
	v_div_scale_f32 v8, vcc, v0, v1, v0
	v_mul_f32_e32 v13, v8, v5
	v_fma_f32 v16, -v4, v13, v8
	v_fmac_f32_e32 v13, v16, v5
	v_fma_f32 v4, -v4, v13, v8
	v_div_fmas_f32 v4, v4, v5, v13
	v_div_fixup_f32 v8, v4, v1, v0
	v_sub_f32_e32 v5, v12, v8
	v_mov_b32_e32 v16, 0
.LBB0_196:
	s_or_b64 exec, exec, s[8:9]
                                        ; implicit-def: $vgpr0
.LBB0_197:
	s_andn2_saveexec_b64 s[6:7], s[6:7]
	s_cbranch_execz .LBB0_201
; %bb.198:
	v_mov_b32_e32 v8, 0
	v_mov_b32_e32 v9, v8
	v_cmp_eq_u32_e32 vcc, 0, v32
	v_mov_b32_e32 v5, 0
	v_mov_b64_e32 v[6:7], v[8:9]
	s_and_saveexec_b64 s[8:9], vcc
	s_cbranch_execz .LBB0_200
; %bb.199:
	v_mov_b32_e32 v1, 0x35a2b3c5
	v_fmac_f32_e32 v1, 0xb3b398d8, v0
	v_mul_f32_e32 v4, 0xbfb8aa3b, v0
	v_fmaak_f32 v1, v0, v1, 0xb7420cb6
	s_mov_b32 s10, 0xbfb8aa3b
	v_rndne_f32_e32 v5, v4
	v_fmaak_f32 v1, v0, v1, 0x38c20728
	v_sub_f32_e32 v6, v4, v5
	v_fma_f32 v4, v0, s10, -v4
	v_fmaak_f32 v1, v0, v1, 0xba280863
	v_fmamk_f32 v4, v0, 0xb2a5705f, v4
	v_fmaak_f32 v1, v0, v1, 0x3b783dec
	v_add_f32_e32 v4, v6, v4
	v_fmaak_f32 v1, v0, v1, 0xbc97b425
	v_exp_f32_e32 v9, v4
	v_cvt_i32_f32_e32 v12, v5
	v_fmaak_f32 v1, v0, v1, 0x3d924925
	v_fmaak_f32 v1, v0, v1, 0xbe4ccccd
	v_mul_f32_e32 v1, v0, v1
	v_mov_b32_e32 v5, 0x3eaaaaab
	v_mov_b32_e32 v4, v0
	s_mov_b32 s10, 0x42ce8ed0
	v_pk_add_f32 v[6:7], v[0:1], v[4:5]
	v_ldexp_f32 v1, v9, v12
	v_cmp_nlt_f32_e32 vcc, s10, v0
	s_mov_b32 s10, 0xc2b17218
	v_mov_b32_e32 v4, 0x7f800000
	v_cndmask_b32_e32 v1, 0, v1, vcc
	v_cmp_ngt_f32_e32 vcc, s10, v0
	s_nop 1
	v_cndmask_b32_e32 v5, v4, v1, vcc
	v_fmac_f32_e32 v5, v6, v7
	v_sub_f32_e32 v0, v5, v7
	v_div_scale_f32 v1, s[10:11], v0, v0, v7
	v_rcp_f32_e32 v4, v1
	s_nop 0
	v_fma_f32 v6, -v1, v4, 1.0
	v_fmac_f32_e32 v4, v6, v4
	v_div_scale_f32 v6, vcc, v7, v0, v7
	v_mul_f32_e32 v9, v6, v4
	v_fma_f32 v12, -v1, v9, v6
	v_fmac_f32_e32 v9, v12, v4
	v_fma_f32 v1, -v1, v9, v6
	v_div_fmas_f32 v1, v1, v4, v9
	v_div_fixup_f32 v6, v1, v0, v7
	v_mov_b32_e32 v7, 0
.LBB0_200:
	s_or_b64 exec, exec, s[8:9]
	v_mov_b32_e32 v9, 0
	v_mov_b32_e32 v16, 0
.LBB0_201:
	s_or_b64 exec, exec, s[6:7]
	s_or_b64 exec, exec, s[0:1]
                                        ; implicit-def: $vgpr0
.LBB0_202:
	s_andn2_saveexec_b64 s[0:1], s[4:5]
	s_cbranch_execz .LBB0_216
.LBB0_203:
	v_cmp_lt_i32_e32 vcc, 0, v32
                                        ; implicit-def: $vgpr8
                                        ; implicit-def: $vgpr5
                                        ; implicit-def: $vgpr6_vgpr7
                                        ; implicit-def: $vgpr16
	s_and_saveexec_b64 s[4:5], vcc
	s_xor_b64 s[4:5], exec, s[4:5]
	s_cbranch_execz .LBB0_211
; %bb.204:
	v_cmp_lt_i32_e32 vcc, 1, v32
                                        ; implicit-def: $vgpr8
                                        ; implicit-def: $vgpr5
                                        ; implicit-def: $vgpr6_vgpr7
                                        ; implicit-def: $vgpr16
	s_and_saveexec_b64 s[6:7], vcc
	s_xor_b64 s[6:7], exec, s[6:7]
	s_cbranch_execz .LBB0_208
; %bb.205:
	v_mov_b32_e32 v8, 0
	v_mov_b32_e32 v9, v8
	v_cmp_eq_u32_e32 vcc, 2, v32
	v_mov_b32_e32 v5, v8
	v_mov_b64_e32 v[6:7], v[8:9]
	v_mov_b32_e32 v16, v8
	s_and_saveexec_b64 s[8:9], vcc
	s_cbranch_execz .LBB0_207
; %bb.206:
	s_mov_b32 s10, 0xbc182fe0
	s_mov_b32 s11, 0xbdf4c255
	v_mov_b32_e32 v4, 0x3d774dcb
	v_mov_b32_e32 v5, 0x3f46dde5
	v_pk_fma_f32 v[6:7], v[0:1], s[10:11], v[4:5] op_sel_hi:[0,1,1]
	s_mov_b32 s10, 0xbd675fa3
	s_mov_b32 s11, 0xbe18a7b1
	v_mov_b32_e32 v4, 0x3eef926a
	v_mov_b32_e32 v5, 0x3eb8b5be
	;; [unrolled: 1-line block ×3, first 2 shown]
	v_pk_fma_f32 v[4:5], v[0:1], s[10:11], v[4:5] op_sel_hi:[0,1,1]
	v_mov_b32_e32 v9, 0x3e2f6fb0
	v_fmac_f32_e32 v16, 0xbf8334b6, v0
	v_fmac_f32_e32 v9, 0xbe02d5bc, v0
	v_mov_b32_e32 v8, v5
	v_mov_b32_e32 v5, v4
.LBB0_207:
	s_or_b64 exec, exec, s[8:9]
                                        ; implicit-def: $vgpr0
.LBB0_208:
	s_andn2_saveexec_b64 s[6:7], s[6:7]
	s_cbranch_execz .LBB0_210
; %bb.209:
	s_mov_b32 s8, 0xbcedeba3
	s_mov_b32 s9, 0xbf233b4e
	v_mov_b32_e32 v4, 0x3e05d48b
	v_mov_b32_e32 v5, 0x4037a2b7
	v_pk_fma_f32 v[6:7], v[0:1], s[8:9], v[4:5] op_sel_hi:[0,1,1]
	s_mov_b32 s8, 0xbdfb5148
	s_mov_b32 s9, 0xbe57acb2
	v_mov_b32_e32 v4, 0x3f26f2fc
	v_mov_b32_e32 v5, 0x3eb21a08
	v_pk_fma_f32 v[0:1], v[0:1], s[8:9], v[4:5] op_sel_hi:[0,1,1]
	v_mov_b32_e32 v9, 0
	v_mov_b32_e32 v8, v1
	;; [unrolled: 1-line block ×4, first 2 shown]
.LBB0_210:
	s_or_b64 exec, exec, s[6:7]
                                        ; implicit-def: $vgpr0
.LBB0_211:
	s_andn2_saveexec_b64 s[4:5], s[4:5]
	s_cbranch_execz .LBB0_215
; %bb.212:
	v_mov_b32_e32 v8, 0
	v_mov_b32_e32 v9, v8
	v_cmp_eq_u32_e32 vcc, 0, v32
	v_mov_b32_e32 v5, 0
	v_mov_b64_e32 v[6:7], v[8:9]
	s_and_saveexec_b64 s[6:7], vcc
	s_cbranch_execz .LBB0_214
; %bb.213:
	s_mov_b32 s10, 0xc0a00000
	v_div_scale_f32 v1, s[8:9], s10, s10, v0
	v_rcp_f32_e32 v4, v1
	v_div_scale_f32 v5, vcc, v0, s10, v0
	s_mov_b32 s11, 0xc0400000
	v_fma_f32 v6, -v1, v4, 1.0
	v_fmac_f32_e32 v4, v6, v4
	v_mul_f32_e32 v6, v5, v4
	v_fma_f32 v7, -v1, v6, v5
	v_fmac_f32_e32 v6, v7, v4
	v_fma_f32 v1, -v1, v6, v5
	v_div_scale_f32 v5, s[8:9], s11, s11, v0
	v_rcp_f32_e32 v7, v5
	v_div_fmas_f32 v1, v1, v4, v6
	v_div_fixup_f32 v1, v1, s10, v0
	v_add_f32_e32 v6, 0.5, v1
	v_fma_f32 v1, -v5, v7, 1.0
	v_fmac_f32_e32 v7, v1, v7
	v_div_scale_f32 v1, vcc, v0, s11, v0
	v_mul_f32_e32 v4, v1, v7
	v_fma_f32 v9, -v5, v4, v1
	v_fmac_f32_e32 v4, v9, v7
	v_fma_f32 v1, -v5, v4, v1
	v_div_fmas_f32 v1, v1, v7, v4
	v_div_fixup_f32 v0, v1, s11, v0
	v_add_f32_e32 v5, 1.0, v0
	v_mov_b32_e32 v7, 0
.LBB0_214:
	s_or_b64 exec, exec, s[6:7]
	v_mov_b32_e32 v9, 0
	v_mov_b32_e32 v16, 0
.LBB0_215:
	s_or_b64 exec, exec, s[4:5]
.LBB0_216:
	s_or_b64 exec, exec, s[0:1]
	v_cmp_lt_i32_e32 vcc, 1, v87
	scratch_store_dword off, v6, s32 offset:112
	scratch_store_dword off, v5, s32 offset:144
	s_and_saveexec_b64 s[0:1], vcc
	s_cbranch_execz .LBB0_218
; %bb.217:
	scratch_store_dword off, v7, s32 offset:116
	scratch_store_dword off, v8, s32 offset:148
.LBB0_218:
	s_or_b64 exec, exec, s[0:1]
	v_cmp_lt_i32_e32 vcc, 3, v87
	s_and_saveexec_b64 s[0:1], vcc
	s_cbranch_execz .LBB0_220
; %bb.219:
	scratch_store_dword off, v16, s32 offset:120
	scratch_store_dword off, v9, s32 offset:152
.LBB0_220:
	s_or_b64 exec, exec, s[0:1]
.LBB0_221:
	s_or_b64 exec, exec, s[2:3]
	v_cmp_lt_i32_e32 vcc, -2, v87
	v_mov_b32_e32 v8, 0
	s_and_saveexec_b64 s[2:3], vcc
	s_cbranch_execz .LBB0_465
; %bb.222:
	v_mul_f32_e32 v0, v84, v85
	v_div_scale_f32 v1, s[0:1], v38, v38, v0
	v_rcp_f32_e32 v4, v1
	v_div_scale_f32 v5, vcc, v0, v38, v0
	s_mov_b32 s0, 0xf800000
	v_fma_f32 v6, -v1, v4, 1.0
	v_fmac_f32_e32 v4, v6, v4
	v_mul_f32_e32 v6, v5, v4
	v_fma_f32 v7, -v1, v6, v5
	v_fmac_f32_e32 v6, v7, v4
	v_fma_f32 v1, -v1, v6, v5
	v_mul_f32_e32 v5, 0x4f800000, v96
	v_cmp_gt_f32_e64 s[0:1], s0, v96
	v_div_fmas_f32 v1, v1, v4, v6
	v_div_fixup_f32 v1, v1, v38, v0
	v_cndmask_b32_e64 v5, v96, v5, s[0:1]
	v_sqrt_f32_e32 v7, v5
	v_sub_f32_e32 v17, v67, v80
	v_sub_f32_e32 v21, v83, v67
	;; [unrolled: 1-line block ×3, first 2 shown]
	v_add_u32_e32 v0, -1, v7
	v_fma_f32 v4, -v0, v7, v5
	v_cmp_ge_f32_e32 vcc, 0, v4
	v_add_u32_e32 v4, 1, v7
	v_fma_f32 v6, -v4, v7, v5
	v_cndmask_b32_e32 v0, v7, v0, vcc
	v_cmp_lt_f32_e32 vcc, 0, v6
	v_mov_b32_e32 v7, 0x260
	s_mov_b32 s62, 0x3fb8aa3b
	v_cndmask_b32_e32 v0, v0, v4, vcc
	v_mul_f32_e32 v4, 0x37800000, v0
	v_cndmask_b32_e64 v0, v0, v4, s[0:1]
	v_div_scale_f32 v4, s[0:1], v37, v37, 0.5
	v_rcp_f32_e32 v6, v4
	v_cmp_class_f32_e32 vcc, v5, v7
	s_mov_b32 s63, 0xc2ce8ed0
	s_mov_b32 s98, 0x42b17218
	v_cndmask_b32_e32 v0, v0, v5, vcc
	v_fma_f32 v5, -v4, v6, 1.0
	v_fmac_f32_e32 v6, v5, v6
	v_div_scale_f32 v5, vcc, 0.5, v37, 0.5
	v_mul_f32_e32 v7, v5, v6
	v_fma_f32 v9, -v4, v7, v5
	v_fmac_f32_e32 v7, v9, v6
	v_fma_f32 v4, -v4, v7, v5
	v_div_scale_f32 v5, s[0:1], v38, v38, 0.5
	v_rcp_f32_e32 v12, v5
	v_div_fmas_f32 v4, v4, v6, v7
	v_div_fixup_f32 v9, v4, v37, 0.5
                                        ; implicit-def: $vgpr92 : SGPR spill to VGPR lane
	v_add_u32_e32 v13, v24, v53
	v_fma_f32 v4, -v5, v12, 1.0
	v_fmac_f32_e32 v12, v4, v12
	v_div_scale_f32 v4, vcc, 0.5, v38, 0.5
	v_mul_f32_e32 v6, v4, v12
	v_fma_f32 v7, -v5, v6, v4
	v_fmac_f32_e32 v6, v7, v12
	v_fma_f32 v4, -v5, v6, v4
	v_div_fmas_f32 v4, v4, v12, v6
	v_div_fixup_f32 v12, v4, v38, 0.5
	v_mul_f32_e64 v4, v69, -v71
	v_div_scale_f32 v5, s[0:1], v37, v37, v4
	v_rcp_f32_e32 v6, v5
	v_sub_f32_e32 v7, v86, v67
	v_mul_f32_e32 v22, v38, v7
	v_mov_b32_e32 v69, 0x7f800000
	v_fma_f32 v7, -v5, v6, 1.0
	v_fmac_f32_e32 v6, v7, v6
	v_div_scale_f32 v7, vcc, v4, v37, v4
	v_mul_f32_e32 v23, v7, v6
	v_fma_f32 v67, -v5, v23, v7
	v_fmac_f32_e32 v23, v67, v6
	v_fma_f32 v5, -v5, v23, v7
	v_div_fmas_f32 v5, v5, v6, v23
	v_div_fixup_f32 v4, v5, v37, v4
	v_mul_f32_e32 v6, v20, v1
	v_mul_f32_e32 v5, v17, v4
	;; [unrolled: 1-line block ×3, first 2 shown]
	v_fma_f32 v5, v17, v5, -v6
	v_mul_f32_e32 v6, 0x3fb8aa3b, v5
	v_fma_f32 v7, v5, s62, -v6
	v_rndne_f32_e32 v23, v6
	v_fmac_f32_e32 v7, 0x32a5705f, v5
	v_sub_f32_e32 v6, v6, v23
	v_add_f32_e32 v6, v6, v7
	v_exp_f32_e32 v6, v6
	v_cvt_i32_f32_e32 v7, v23
	v_cmp_ngt_f32_e32 vcc, s63, v5
	v_writelane_b32 v92, s2, 0
	v_cmp_lt_i32_e64 s[4:5], 1, v13
	v_ldexp_f32 v6, v6, v7
	v_cndmask_b32_e32 v6, 0, v6, vcc
	v_cmp_nlt_f32_e32 vcc, s98, v5
	v_writelane_b32 v92, s3, 1
	v_writelane_b32 v92, s4, 2
	v_cndmask_b32_e32 v5, v69, v6, vcc
	v_mul_f32_e32 v5, 0x40490fdb, v5
	v_div_scale_f32 v6, s[0:1], v0, v0, v5
	v_rcp_f32_e32 v7, v6
	v_sub_f32_e32 v23, v86, v66
	v_cmp_lt_i32_e64 s[0:1], 0, v13
	v_writelane_b32 v92, s5, 3
	v_add_u32_e32 v16, v27, v64
	v_mul_f32_e32 v67, v38, v23
	v_sub_f32_e32 v66, v83, v66
	v_writelane_b32 v92, s0, 4
	v_fmac_f32_e32 v67, v37, v66
	v_fma_f32 v66, -v6, v7, 1.0
	v_cmp_lt_i32_e64 s[2:3], 0, v16
	v_writelane_b32 v92, s1, 5
	v_fmac_f32_e32 v7, v66, v7
	v_div_scale_f32 v66, vcc, v5, v0, v5
	v_writelane_b32 v92, s2, 6
	v_mul_f32_e32 v71, v66, v7
	s_and_b64 s[0:1], s[0:1], s[2:3]
	v_writelane_b32 v92, s3, 7
	v_fma_f32 v80, -v6, v71, v66
	v_writelane_b32 v92, s0, 8
	v_fmac_f32_e32 v71, v80, v7
	v_fma_f32 v6, -v6, v71, v66
	v_writelane_b32 v92, s1, 9
	v_cmp_lt_i32_e64 s[0:1], -1, v27
	v_div_fmas_f32 v6, v6, v7, v71
	v_sub_f32_e32 v55, v51, v55
	v_writelane_b32 v92, s0, 10
	v_div_fixup_f32 v66, v6, v0, v5
	v_lshlrev_b32_e32 v5, 2, v64
	v_writelane_b32 v92, s1, 11
	s_add_i32 s0, s32, 0xb0
	v_mul_lo_u32 v6, v53, 28
	s_mov_b32 s2, s0
	v_sub_f32_e32 v54, v52, v54
	v_mul_f32_e32 v7, v55, v1
	v_add3_u32 v53, s2, v5, v6
	v_mul_f32_e32 v6, v54, v4
	v_mul_f32_e32 v7, v55, v7
	v_fma_f32 v6, v54, v6, -v7
	v_mul_f32_e32 v7, 0x3fb8aa3b, v6
	v_sub_f32_e32 v80, v68, v52
	v_sub_f32_e32 v5, v82, v52
	v_fma_f32 v52, v6, s62, -v7
	v_rndne_f32_e32 v81, v7
	v_fmac_f32_e32 v52, 0x32a5705f, v6
	v_sub_f32_e32 v7, v7, v81
	v_add_f32_e32 v7, v7, v52
	v_exp_f32_e32 v7, v7
	v_cvt_i32_f32_e32 v83, v81
	v_mul_f32_e32 v52, v38, v5
	v_cmp_ngt_f32_e32 vcc, s63, v6
	v_sub_f32_e32 v81, v82, v51
	v_ldexp_f32 v5, v7, v83
	v_cndmask_b32_e32 v5, 0, v5, vcc
	v_cmp_nlt_f32_e32 vcc, s98, v6
	v_mul_f32_e32 v82, v38, v81
	v_sub_f32_e32 v51, v68, v51
	v_cndmask_b32_e32 v5, v69, v5, vcc
	v_mul_f32_e32 v5, 0x40490fdb, v5
	v_div_scale_f32 v6, s[0:1], v0, v0, v5
	v_rcp_f32_e32 v7, v6
	v_fmac_f32_e32 v82, v37, v51
	v_sub_f32_e32 v49, v35, v49
	v_sub_f32_e32 v48, v36, v48
	v_fma_f32 v51, -v6, v7, 1.0
	v_fmac_f32_e32 v7, v51, v7
	v_div_scale_f32 v51, vcc, v5, v0, v5
	v_mul_f32_e32 v68, v51, v7
	v_fma_f32 v83, -v6, v68, v51
	v_fmac_f32_e32 v68, v83, v7
	v_mul_f32_e32 v1, v49, v1
	v_fma_f32 v6, -v6, v68, v51
	v_mul_f32_e32 v4, v48, v4
	v_mul_f32_e32 v1, v49, v1
	v_div_fmas_f32 v6, v6, v7, v68
	v_fma_f32 v1, v48, v4, -v1
	v_div_fixup_f32 v51, v6, v0, v5
	v_lshlrev_b32_e32 v5, 2, v50
	v_mul_lo_u32 v6, v39, 28
	v_mul_f32_e32 v4, 0x3fb8aa3b, v1
	v_add_u32_e32 v64, v25, v39
	v_add3_u32 v39, s2, v5, v6
	v_fma_f32 v6, v1, s62, -v4
	v_rndne_f32_e32 v7, v4
	v_cmp_lt_i32_e64 s[8:9], 1, v64
	v_fmac_f32_e32 v6, 0x32a5705f, v1
	v_sub_f32_e32 v4, v4, v7
	v_writelane_b32 v92, s8, 12
	v_add_f32_e32 v4, v4, v6
	v_cmp_lt_i32_e64 s[0:1], 0, v64
	v_writelane_b32 v92, s9, 13
	v_exp_f32_e32 v4, v4
	v_cvt_i32_f32_e32 v6, v7
	v_add_u32_e32 v71, v28, v50
	v_writelane_b32 v92, s0, 14
	v_cmp_lt_i32_e64 s[4:5], 0, v71
	v_ldexp_f32 v4, v4, v6
	v_writelane_b32 v92, s1, 15
	v_writelane_b32 v92, s4, 16
	s_and_b64 s[0:1], s[0:1], s[4:5]
	v_cmp_ngt_f32_e32 vcc, s63, v1
	v_writelane_b32 v92, s5, 17
	v_writelane_b32 v92, s0, 18
	v_cndmask_b32_e32 v4, 0, v4, vcc
	v_cmp_nlt_f32_e32 vcc, s98, v1
	v_writelane_b32 v92, s1, 19
	v_cmp_lt_i32_e64 s[0:1], -1, v28
	v_cndmask_b32_e32 v1, v69, v4, vcc
	v_mul_f32_e32 v1, 0x40490fdb, v1
	v_writelane_b32 v92, s0, 20
	v_sub_f32_e32 v5, v70, v36
	v_sub_f32_e32 v83, v65, v36
	v_writelane_b32 v92, s1, 21
	v_div_scale_f32 v4, s[0:1], v0, v0, v1
	v_mul_f32_e32 v36, v38, v5
	v_rcp_f32_e32 v5, v4
	v_add_u32_e32 v50, v26, v33
	v_sub_f32_e32 v70, v70, v35
	v_mul_f32_e32 v38, v38, v70
	v_sub_f32_e32 v6, v65, v35
	v_cmp_lt_i32_e64 s[8:9], 1, v50
	v_fmac_f32_e32 v38, v37, v6
	v_fma_f32 v6, -v4, v5, 1.0
	v_writelane_b32 v92, s8, 22
	v_fmac_f32_e32 v5, v6, v5
	v_div_scale_f32 v6, vcc, v1, v0, v1
	v_cmp_lt_i32_e64 s[0:1], 0, v50
	v_writelane_b32 v92, s9, 23
	v_add_u32_e32 v68, v29, v34
	v_mul_f32_e32 v7, v6, v5
	v_writelane_b32 v92, s0, 24
	v_fma_f32 v35, -v4, v7, v6
	v_cmp_lt_i32_e64 s[4:5], 0, v68
	v_writelane_b32 v92, s1, 25
	v_fmac_f32_e32 v7, v35, v5
	v_writelane_b32 v92, s4, 26
	v_fma_f32 v4, -v4, v7, v6
	s_and_b64 s[0:1], s[0:1], s[4:5]
	v_writelane_b32 v92, s5, 27
	v_div_fmas_f32 v4, v4, v5, v7
	v_writelane_b32 v92, s0, 28
	v_fmac_f32_e32 v22, v37, v21
	v_fmac_f32_e32 v52, v37, v80
	;; [unrolled: 1-line block ×3, first 2 shown]
	v_div_fixup_f32 v35, v4, v0, v1
	v_writelane_b32 v92, s1, 29
	v_cmp_lt_i32_e64 s[0:1], -1, v29
	v_lshlrev_b32_e32 v0, 2, v34
	v_add_u32_e32 v34, -1, v29
	v_add_u32_e32 v37, -1, v26
	v_add_u32_e32 v65, -1, v28
	v_add_u32_e32 v84, -1, v25
	v_add_u32_e32 v85, -1, v27
	v_add_u32_e32 v86, -1, v24
	v_writelane_b32 v92, s0, 30
	v_mul_lo_u32 v1, v33, 28
	v_and_b32_e32 v87, -4, v86
	v_and_b32_e32 v97, -4, v85
	v_and_b32_e32 v99, -4, v84
	v_and_b32_e32 v101, -4, v65
	v_and_b32_e32 v103, -4, v37
	v_and_b32_e32 v113, -4, v34
	v_mov_b32_e32 v8, 0
	s_mov_b32 s99, 0x7f800000
	s_mov_b32 s74, 0
	v_cmp_lt_i32_e64 s[6:7], 1, v16
	v_cmp_lt_i32_e64 s[10:11], -1, v24
	v_cmp_lt_i32_e64 s[12:13], 1, v24
	v_cmp_eq_f32_e64 s[14:15], 1.0, v17
	v_cmp_lt_u32_e64 s[16:17], 1, v27
	v_cmp_eq_f32_e64 s[18:19], 1.0, v20
	v_cmp_lt_i32_e64 s[26:27], 1, v71
	v_cmp_lt_i32_e64 s[40:41], -1, v25
	v_cmp_lt_i32_e64 s[42:43], 1, v25
	v_cmp_eq_f32_e64 s[44:45], 1.0, v54
	v_cmp_lt_u32_e64 s[46:47], 1, v28
	v_cmp_eq_f32_e64 s[56:57], 1.0, v55
	v_cmp_lt_i32_e64 s[72:73], 1, v68
	v_writelane_b32 v92, s1, 31
	v_cmp_lt_i32_e64 s[76:77], -1, v26
	v_cmp_lt_i32_e64 s[78:79], 1, v26
	v_cmp_eq_f32_e64 s[88:89], 1.0, v48
	v_cmp_lt_u32_e64 s[90:91], 1, v29
	v_cmp_eq_f32_e64 s[92:93], 1.0, v49
	v_add3_u32 v33, s2, v0, v1
	v_cmp_lt_u32_e64 s[94:95], 4, v24
	v_or_b32_e32 v96, 2, v87
	v_cmp_ne_u32_e64 s[30:31], v86, v87
	v_cmp_lt_u32_e64 s[34:35], 4, v27
	v_or_b32_e32 v98, 2, v97
	v_cmp_ne_u32_e64 s[36:37], v85, v97
	;; [unrolled: 3-line block ×3, first 2 shown]
	v_or_b32_e32 v102, 2, v101
	v_or_b32_e32 v112, 2, v103
	;; [unrolled: 1-line block ×3, first 2 shown]
	s_add_i32 s75, s32, 0xd4
	v_add_u32_e32 v115, 1, v24
	v_add_u32_e32 v116, 1, v27
	;; [unrolled: 1-line block ×6, first 2 shown]
	s_mov_b32 s0, 0x3f2aaaab
	v_mov_b32_e32 v41, 0x3e91f4c4
	s_mov_b32 s1, 0x3f317218
	s_movk_i32 s2, 0x204
	v_mov_b32_e32 v42, 0x37000000
	v_mov_b32_e32 v43, 0x7fc00000
	s_brev_b32 s3, -2
	v_cmp_lt_u32_e64 s[50:51], 4, v28
	v_cmp_ne_u32_e64 s[52:53], v65, v101
	v_cmp_lt_u32_e64 s[54:55], 4, v26
	v_cmp_ne_u32_e64 s[64:65], v37, v103
	;; [unrolled: 2-line block ×3, first 2 shown]
	s_mov_b64 s[84:85], 0
                                        ; implicit-def: $vgpr0
	s_branch .LBB0_225
.LBB0_223:                              ;   in Loop: Header=BB0_225 Depth=1
	s_or_b64 exec, exec, s[86:87]
.LBB0_224:                              ;   in Loop: Header=BB0_225 Depth=1
	s_or_b64 exec, exec, s[4:5]
	s_add_i32 s4, s32, s20
	s_addk_i32 s4, 0x90
	scratch_load_dword v1, off, s4
	v_mul_f32_e32 v0, v44, v57
	v_mul_f32_e32 v0, v0, v45
	s_add_i32 s4, s74, 1
	v_cmp_eq_u32_e32 vcc, s74, v32
	s_or_b64 s[84:85], vcc, s[84:85]
	s_mov_b32 s74, s4
	s_waitcnt vmcnt(0)
	v_fmac_f32_e32 v8, v0, v1
	s_andn2_b64 exec, exec, s[84:85]
	s_cbranch_execz .LBB0_464
.LBB0_225:                              ; =>This Loop Header: Depth=1
                                        ;     Child Loop BB0_231 Depth 2
                                        ;     Child Loop BB0_234 Depth 2
                                        ;     Child Loop BB0_238 Depth 2
                                        ;       Child Loop BB0_240 Depth 3
                                        ;     Child Loop BB0_245 Depth 2
                                        ;       Child Loop BB0_252 Depth 3
                                        ;         Child Loop BB0_255 Depth 4
                                        ;         Child Loop BB0_259 Depth 4
                                        ;         Child Loop BB0_265 Depth 4
                                        ;         Child Loop BB0_269 Depth 4
                                        ;         Child Loop BB0_273 Depth 4
                                        ;         Child Loop BB0_277 Depth 4
                                        ;       Child Loop BB0_281 Depth 3
                                        ;       Child Loop BB0_285 Depth 3
                                        ;       Child Loop BB0_290 Depth 3
                                        ;       Child Loop BB0_294 Depth 3
                                        ;       Child Loop BB0_298 Depth 3
                                        ;       Child Loop BB0_302 Depth 3
                                        ;     Child Loop BB0_311 Depth 2
                                        ;     Child Loop BB0_314 Depth 2
                                        ;     Child Loop BB0_318 Depth 2
                                        ;       Child Loop BB0_320 Depth 3
                                        ;     Child Loop BB0_325 Depth 2
                                        ;       Child Loop BB0_332 Depth 3
                                        ;         Child Loop BB0_335 Depth 4
                                        ;         Child Loop BB0_339 Depth 4
                                        ;         Child Loop BB0_345 Depth 4
                                        ;         Child Loop BB0_349 Depth 4
                                        ;         Child Loop BB0_353 Depth 4
                                        ;         Child Loop BB0_357 Depth 4
                                        ;       Child Loop BB0_361 Depth 3
                                        ;       Child Loop BB0_365 Depth 3
                                        ;       Child Loop BB0_370 Depth 3
                                        ;       Child Loop BB0_374 Depth 3
                                        ;       Child Loop BB0_378 Depth 3
                                        ;       Child Loop BB0_382 Depth 3
	;; [unrolled: 18-line block ×3, first 2 shown]
	s_lshl_b32 s20, s74, 2
	s_add_i32 s4, s32, s20
	s_addk_i32 s4, 0x70
	scratch_load_dword v0, off, s4
	s_waitcnt vmcnt(0)
	v_add_f32_e32 v1, 1.0, v0
	v_mul_f32_e32 v0, 0.5, v0
	v_div_scale_f32 v4, s[4:5], v1, v1, 1.0
	v_div_scale_f32 v6, s[4:5], v31, v31, v0
	v_rcp_f32_e32 v7, v4
	v_rcp_f32_e32 v44, v6
	v_div_scale_f32 v5, vcc, 1.0, v1, 1.0
	v_fma_f32 v46, -v4, v7, 1.0
	v_fma_f32 v47, -v6, v44, 1.0
	v_fmac_f32_e32 v7, v46, v7
	v_div_scale_f32 v45, s[70:71], v0, v31, v0
	v_fmac_f32_e32 v44, v47, v44
	v_mul_f32_e32 v46, v5, v7
	v_mul_f32_e32 v47, v45, v44
	v_fma_f32 v56, -v4, v46, v5
	v_fma_f32 v57, -v6, v47, v45
	v_fmac_f32_e32 v46, v56, v7
	v_fmac_f32_e32 v47, v57, v44
	v_fma_f32 v4, -v4, v46, v5
	v_fma_f32 v5, -v6, v47, v45
	v_div_fmas_f32 v4, v4, v7, v46
	s_mov_b64 vcc, s[70:71]
	v_div_fixup_f32 v56, v4, v1, 1.0
	v_div_fmas_f32 v1, v5, v44, v47
	v_div_fixup_f32 v0, v1, v31, v0
	v_mul_f32_e32 v45, v0, v56
	v_mul_f32_e32 v1, v21, v56
	;; [unrolled: 1-line block ×3, first 2 shown]
	v_cvt_f64_f32_e32 v[0:1], v1
	v_cvt_f64_f32_e32 v[4:5], v4
	v_fmac_f64_e32 v[0:1], 2.0, v[4:5]
	v_cvt_f32_f64_e32 v0, v[0:1]
	scratch_store_dword off, v66, s32 offset:176
	s_mov_b64 s[4:5], exec
	v_readlane_b32 s8, v92, 4
	v_readlane_b32 s9, v92, 5
	s_and_b64 s[8:9], s[4:5], s[8:9]
	s_mov_b64 exec, s[8:9]
	s_cbranch_execz .LBB0_227
; %bb.226:                              ;   in Loop: Header=BB0_225 Depth=1
	v_mul_f32_e32 v1, v66, v0
	scratch_store_dword off, v1, s32 offset:204
.LBB0_227:                              ;   in Loop: Header=BB0_225 Depth=1
	s_or_b64 exec, exec, s[4:5]
	v_mul_f32_e32 v1, v23, v56
	v_cvt_f64_f32_e32 v[4:5], v1
	v_mul_f32_e32 v1, v67, v45
	v_cvt_f64_f32_e32 v[6:7], v1
	v_fmac_f64_e32 v[4:5], 2.0, v[6:7]
	v_cvt_f32_f64_e32 v4, v[4:5]
	s_mov_b64 s[4:5], exec
	v_readlane_b32 s8, v92, 6
	v_readlane_b32 s9, v92, 7
	s_and_b64 s[8:9], s[4:5], s[8:9]
	s_mov_b64 exec, s[8:9]
	s_cbranch_execz .LBB0_229
; %bb.228:                              ;   in Loop: Header=BB0_225 Depth=1
	v_mul_f32_e32 v1, v66, v4
	scratch_store_dword off, v1, s32 offset:180
.LBB0_229:                              ;   in Loop: Header=BB0_225 Depth=1
	s_or_b64 exec, exec, s[4:5]
	v_fma_f32 v47, v9, v56, v45
	s_mov_b64 s[4:5], exec
	v_readlane_b32 s8, v92, 2
	v_readlane_b32 s9, v92, 3
	s_and_b64 s[8:9], s[4:5], s[8:9]
	s_mov_b64 exec, s[8:9]
	s_cbranch_execz .LBB0_232
; %bb.230:                              ;   in Loop: Header=BB0_225 Depth=1
	scratch_load_dword v1, off, s32 offset:204
	s_add_i32 s8, s32, 0xb0
	s_mov_b32 s21, s8
	s_mov_b32 s22, 1
	s_mov_b64 s[8:9], 0
.LBB0_231:                              ;   Parent Loop BB0_225 Depth=1
                                        ; =>  This Inner Loop Header: Depth=2
	scratch_load_dword v5, off, s21
	v_cvt_f32_i32_e32 v6, s22
	s_add_i32 s22, s22, 1
	s_add_i32 s23, s21, 56
	;; [unrolled: 1-line block ×3, first 2 shown]
	v_mul_f32_e32 v6, v47, v6
	v_cmp_eq_u32_e32 vcc, s22, v13
	s_or_b64 s[8:9], vcc, s[8:9]
	s_waitcnt vmcnt(0)
	v_mul_f32_e32 v5, v5, v6
	v_fmac_f32_e32 v5, v1, v0
	v_mov_b32_e32 v1, v5
	scratch_store_dword off, v5, s23
	s_andn2_b64 exec, exec, s[8:9]
	s_cbranch_execnz .LBB0_231
.LBB0_232:                              ;   in Loop: Header=BB0_225 Depth=1
	s_or_b64 exec, exec, s[4:5]
	v_fma_f32 v46, v12, v56, v45
	s_and_saveexec_b64 s[4:5], s[6:7]
	s_cbranch_execz .LBB0_235
; %bb.233:                              ;   in Loop: Header=BB0_225 Depth=1
	scratch_load_dword v0, off, s32 offset:180
	s_add_i32 s8, s32, 0xb0
	s_mov_b32 s21, s8
	s_mov_b32 s22, 1
	s_mov_b64 s[8:9], 0
.LBB0_234:                              ;   Parent Loop BB0_225 Depth=1
                                        ; =>  This Inner Loop Header: Depth=2
	scratch_load_dword v1, off, s21
	v_cvt_f32_i32_e32 v5, s22
	s_add_i32 s22, s22, 1
	s_add_i32 s23, s21, 8
	;; [unrolled: 1-line block ×3, first 2 shown]
	v_mul_f32_e32 v5, v46, v5
	v_cmp_eq_u32_e32 vcc, s22, v16
	s_or_b64 s[8:9], vcc, s[8:9]
	s_waitcnt vmcnt(0)
	v_mul_f32_e32 v1, v1, v5
	v_fmac_f32_e32 v1, v0, v4
	v_mov_b32_e32 v0, v1
	scratch_store_dword off, v1, s23
	s_andn2_b64 exec, exec, s[8:9]
	s_cbranch_execnz .LBB0_234
.LBB0_235:                              ;   in Loop: Header=BB0_225 Depth=1
	s_or_b64 exec, exec, s[4:5]
	s_mov_b64 s[4:5], exec
	v_readlane_b32 s8, v92, 8
	v_readlane_b32 s9, v92, 9
	s_and_b64 s[8:9], s[4:5], s[8:9]
	s_mov_b64 exec, s[8:9]
	s_cbranch_execz .LBB0_241
; %bb.236:                              ;   in Loop: Header=BB0_225 Depth=1
	s_mov_b32 s22, 1
	s_mov_b64 s[8:9], 0
	s_mov_b32 s21, s75
	s_branch .LBB0_238
.LBB0_237:                              ;   in Loop: Header=BB0_238 Depth=2
	s_or_b64 exec, exec, s[24:25]
	s_add_i32 s23, s22, 1
	s_add_i32 s21, s21, 28
	v_cmp_eq_u32_e32 vcc, s22, v13
	s_or_b64 s[8:9], vcc, s[8:9]
	s_mov_b32 s22, s23
	s_andn2_b64 exec, exec, s[8:9]
	s_cbranch_execz .LBB0_241
.LBB0_238:                              ;   Parent Loop BB0_225 Depth=1
                                        ; =>  This Loop Header: Depth=2
                                        ;       Child Loop BB0_240 Depth 3
	s_mul_i32 s23, s22, 28
	s_add_i32 s24, s32, s23
	s_add_i32 s23, s24, 0xb0
	;; [unrolled: 1-line block ×3, first 2 shown]
	scratch_load_dword v1, off, s23
	scratch_load_dword v6, off, s24
	v_cvt_f32_u32_e32 v0, s22
	v_mul_f32_e32 v0, v45, v0
	s_waitcnt vmcnt(1)
	v_mul_f32_e32 v5, v1, v4
	s_waitcnt vmcnt(0)
	v_fmac_f32_e32 v5, v6, v0
	scratch_store_dword off, v5, s23 offset:4
	s_and_saveexec_b64 s[24:25], s[6:7]
	s_cbranch_execz .LBB0_237
; %bb.239:                              ;   in Loop: Header=BB0_238 Depth=2
	s_mov_b32 s23, 1
	s_mov_b64 s[70:71], 0
	s_mov_b32 s28, s21
.LBB0_240:                              ;   Parent Loop BB0_225 Depth=1
                                        ;     Parent Loop BB0_238 Depth=2
                                        ; =>    This Inner Loop Header: Depth=3
	s_add_i32 s29, s28, -8
	s_add_i32 s58, s28, 0xffffffe0
	scratch_load_dword v7, off, s29
	scratch_load_dword v6, off, s58
	v_cvt_f32_i32_e32 v1, s23
	s_add_i32 s23, s23, 1
	v_cmp_eq_u32_e32 vcc, s23, v16
	v_mul_f32_e32 v1, v46, v1
	s_waitcnt vmcnt(0)
	v_pk_mul_f32 v[6:7], v[0:1], v[6:7]
	s_nop 0
	v_add_f32_e32 v1, v6, v7
	v_fmac_f32_e32 v1, v5, v4
	scratch_store_dword off, v1, s28
	s_add_i32 s28, s28, 4
	s_or_b64 s[70:71], vcc, s[70:71]
	v_mov_b32_e32 v5, v1
	s_andn2_b64 exec, exec, s[70:71]
	s_cbranch_execnz .LBB0_240
	s_branch .LBB0_237
.LBB0_241:                              ;   in Loop: Header=BB0_225 Depth=1
	s_or_b64 exec, exec, s[4:5]
	v_mov_b32_e32 v44, 0
	s_mov_b64 s[4:5], exec
	v_readlane_b32 s8, v92, 10
	v_readlane_b32 s9, v92, 11
	s_and_b64 s[8:9], s[4:5], s[8:9]
	s_mov_b64 exec, s[8:9]
	s_cbranch_execz .LBB0_305
; %bb.242:                              ;   in Loop: Header=BB0_225 Depth=1
	v_mov_b32_e32 v44, 0
	s_mov_b32 s22, 0
	s_mov_b32 s21, -1
	s_mov_b64 s[86:87], 0
	v_mov_b32_e32 v57, v116
	v_mov_b32_e32 v58, v85
	s_branch .LBB0_245
.LBB0_243:                              ;   in Loop: Header=BB0_245 Depth=2
	s_or_b64 exec, exec, s[24:25]
.LBB0_244:                              ;   in Loop: Header=BB0_245 Depth=2
	s_or_b64 exec, exec, s[8:9]
	v_mul_lo_u32 v0, v0, s23
	v_sub_u32_e32 v1, 0, v0
	v_max_i32_e32 v1, v0, v1
	v_cvt_f32_u32_e32 v4, v1
	v_sub_u32_e32 v5, 0, v6
	v_xor_b32_e32 v0, v6, v0
	v_max_i32_e32 v5, v6, v5
	v_rcp_iflag_f32_e32 v4, v4
	v_sub_u32_e32 v6, 0, v1
	v_ashrrev_i32_e32 v0, 31, v0
	s_add_i32 s21, s21, 1
	v_mul_f32_e32 v4, 0x4f7ffffe, v4
	v_cvt_u32_f32_e32 v4, v4
	v_add_u32_e32 v58, -1, v58
	v_add_u32_e32 v57, -1, v57
	v_mul_lo_u32 v6, v6, v4
	v_mul_hi_u32 v6, v4, v6
	v_add_u32_e32 v4, v4, v6
	v_mul_hi_u32 v4, v5, v4
	v_mul_lo_u32 v6, v4, v1
	v_sub_u32_e32 v5, v5, v6
	v_add_u32_e32 v60, 1, v4
	v_cmp_ge_u32_e32 vcc, v5, v1
	v_sub_u32_e32 v6, v5, v1
	s_nop 0
	v_cndmask_b32_e32 v4, v4, v60, vcc
	v_cndmask_b32_e32 v5, v5, v6, vcc
	v_add_u32_e32 v6, 1, v4
	v_cmp_ge_u32_e32 vcc, v5, v1
	s_nop 1
	v_cndmask_b32_e32 v1, v4, v6, vcc
	v_cvt_f32_i32_e32 v4, v7
	v_xor_b32_e32 v1, v1, v0
	v_sub_u32_e32 v0, v1, v0
	v_cvt_f32_i32_e32 v76, v0
	v_cndmask_b32_e64 v77, v4, 1.0, s[18:19]
	v_cmp_neq_f32_e32 vcc, 0, v77
	v_cmp_gt_f32_e64 s[80:81], 0, v77
	s_nop 0
	v_cndmask_b32_e32 v78, 1.0, v20, vcc
	v_frexp_mant_f32_e64 v0, |v78|
	v_cmp_gt_f32_e32 vcc, s0, v0
	v_cmp_class_f32_e64 s[8:9], v78, s2
	s_nop 0
	v_cndmask_b32_e64 v1, 1.0, 2.0, vcc
	v_mul_f32_e32 v0, v0, v1
	v_add_f32_e32 v5, 1.0, v0
	v_rcp_f32_e32 v62, v5
	v_add_f32_e32 v1, -1.0, v5
	v_sub_f32_e32 v7, v0, v1
	v_add_f32_e32 v1, -1.0, v0
	v_mul_f32_e32 v63, v1, v62
	v_mul_f32_e32 v4, v5, v63
	v_fma_f32 v6, v63, v5, -v4
	v_fmac_f32_e32 v6, v63, v7
	v_add_f32_e32 v0, v4, v6
	v_sub_f32_e32 v5, v1, v0
	v_pk_add_f32 v[60:61], v[0:1], v[4:5] neg_lo:[0,1] neg_hi:[0,1]
	v_mov_b32_e32 v7, v0
	v_pk_add_f32 v[0:1], v[60:61], v[6:7] neg_lo:[0,1] neg_hi:[0,1]
	s_nop 0
	v_add_f32_e32 v0, v0, v1
	v_add_f32_e32 v0, v5, v0
	v_mul_f32_e32 v1, v62, v0
	v_add_f32_e32 v0, v63, v1
	v_sub_f32_e32 v4, v0, v63
	v_sub_f32_e32 v72, v1, v4
	v_mul_f32_e32 v1, v0, v0
	v_fma_f32 v5, v0, v0, -v1
	v_add_f32_e32 v4, v72, v72
	v_fmac_f32_e32 v5, v0, v4
	v_add_f32_e32 v4, v1, v5
	v_fmamk_f32 v6, v4, 0x3e76c4e1, v41
	v_fmaak_f32 v6, v4, v6, 0x3ecccdef
	v_sub_f32_e32 v1, v4, v1
	v_sub_f32_e32 v73, v5, v1
	v_mul_f32_e32 v1, v4, v6
	v_fma_f32 v5, v4, v6, -v1
	v_fmac_f32_e32 v5, v73, v6
	v_add_f32_e32 v6, v1, v5
	v_add_f32_e32 v7, 0x3f2aaaaa, v6
	v_sub_f32_e32 v1, v6, v1
	v_sub_f32_e32 v1, v5, v1
	v_add_f32_e32 v5, 0xbf2aaaaa, v7
	v_add_f32_e32 v1, 0x31739010, v1
	v_sub_f32_e32 v5, v6, v5
	v_pk_mul_f32 v[60:61], v[0:1], v[4:5]
	v_pk_add_f32 v[62:63], v[0:1], v[4:5]
	v_fma_f32 v6, v4, v0, -v60
	v_fmac_f32_e32 v6, v4, v72
	v_mov_b32_e32 v61, v63
	v_fmac_f32_e32 v6, v73, v0
	v_pk_add_f32 v[4:5], v[60:61], v[6:7]
	v_ldexp_f32 v74, v72, 1
	v_sub_f32_e32 v1, v4, v60
	v_sub_f32_e32 v1, v6, v1
	;; [unrolled: 1-line block ×3, first 2 shown]
	v_add_f32_e32 v62, v63, v6
	v_pk_mul_f32 v[6:7], v[4:5], v[4:5] op_sel:[0,1] op_sel_hi:[1,0]
	v_cvt_f64_f32_e64 v[60:61], |v78|
	v_frexp_exp_i32_f64_e32 v7, v[60:61]
	v_subbrev_co_u32_e32 v7, vcc, 0, v7, vcc
	v_cvt_f32_i32_e32 v7, v7
	v_fma_f32 v60, v4, v5, -v6
	v_fmac_f32_e32 v60, v4, v62
	v_fmac_f32_e32 v60, v1, v5
	v_mul_f32_e32 v4, 0x3f317218, v7
	v_fma_f32 v62, v7, s1, -v4
	v_fmac_f32_e32 v62, 0xb102e308, v7
	v_ldexp_f32 v63, v0, 1
	v_add_f32_e32 v5, v6, v60
	v_pk_add_f32 v[0:1], v[4:5], v[62:63]
	v_mov_b32_e32 v72, v5
	v_mov_b32_e32 v73, v1
	;; [unrolled: 1-line block ×3, first 2 shown]
	v_pk_add_f32 v[6:7], v[72:73], v[6:7] neg_lo:[0,1] neg_hi:[0,1]
	v_mov_b32_e32 v61, v5
	v_pk_add_f32 v[6:7], v[60:61], v[6:7] neg_lo:[0,1] neg_hi:[0,1]
	v_mov_b32_e32 v63, v0
	v_add_f32_e32 v5, v74, v6
	v_add_f32_e32 v5, v5, v7
	v_pk_add_f32 v[6:7], v[0:1], v[4:5] neg_lo:[0,1] neg_hi:[0,1]
	v_pk_add_f32 v[60:61], v[0:1], v[4:5]
	v_mov_b32_e32 v4, v5
	v_mov_b32_e32 v7, v61
	v_pk_add_f32 v[72:73], v[62:63], v[6:7] neg_lo:[0,1] neg_hi:[0,1]
	v_pk_add_f32 v[6:7], v[62:63], v[6:7]
	v_mov_b32_e32 v5, v0
	v_pk_add_f32 v[62:63], v[6:7], v[0:1] op_sel:[1,0] op_sel_hi:[0,1] neg_lo:[0,1] neg_hi:[0,1]
	v_pk_add_f32 v[74:75], v[60:61], v[62:63] op_sel_hi:[1,0] neg_lo:[0,1] neg_hi:[0,1]
	v_mov_b32_e32 v60, v61
	v_mov_b32_e32 v61, v7
	v_pk_mov_b32 v[62:63], v[0:1], v[62:63] op_sel:[1,0]
	v_mov_b32_e32 v74, v72
	v_pk_add_f32 v[60:61], v[60:61], v[62:63] neg_lo:[0,1] neg_hi:[0,1]
	v_mov_b32_e32 v73, v7
	v_pk_add_f32 v[0:1], v[4:5], v[60:61] neg_lo:[0,1] neg_hi:[0,1]
	s_nop 0
	v_pk_add_f32 v[4:5], v[74:75], v[0:1]
	s_nop 0
	v_pk_add_f32 v[60:61], v[4:5], v[4:5] op_sel:[0,1] op_sel_hi:[1,0]
	s_nop 0
	v_pk_add_f32 v[6:7], v[6:7], v[60:61] op_sel:[1,0] op_sel_hi:[0,1]
	v_mov_b32_e32 v5, v6
	v_pk_add_f32 v[62:63], v[4:5], v[72:73] neg_lo:[0,1] neg_hi:[0,1]
	v_mov_b32_e32 v1, v60
	v_sub_f32_e32 v4, v4, v62
	v_pk_add_f32 v[0:1], v[0:1], v[62:63] neg_lo:[0,1] neg_hi:[0,1]
	v_sub_f32_e32 v4, v72, v4
	v_add_f32_e32 v0, v0, v4
	v_add_f32_e32 v0, v0, v1
	;; [unrolled: 1-line block ×3, first 2 shown]
	v_sub_f32_e32 v4, v1, v6
	v_sub_f32_e32 v0, v0, v4
	v_mul_f32_e32 v4, v77, v1
	v_fma_f32 v1, v77, v1, -v4
	v_fmac_f32_e32 v1, v77, v0
	v_add_f32_e32 v0, v4, v1
	v_cmp_class_f32_e64 vcc, v4, s2
	v_sub_f32_e32 v5, v0, v4
	v_sub_f32_e32 v1, v1, v5
	v_cndmask_b32_e32 v0, v0, v4, vcc
	v_cmp_eq_f32_e32 vcc, s98, v0
	s_nop 1
	v_cndmask_b32_e32 v4, 0, v42, vcc
	v_sub_f32_e32 v5, v0, v4
	v_mul_f32_e32 v6, 0x3fb8aa3b, v5
	v_fma_f32 v7, v5, s62, -v6
	v_rndne_f32_e32 v60, v6
	v_fmac_f32_e32 v7, 0x32a5705f, v5
	v_sub_f32_e32 v6, v6, v60
	v_add_f32_e32 v6, v6, v7
	v_exp_f32_e32 v6, v6
	v_cvt_i32_f32_e32 v7, v60
	v_cmp_neq_f32_e64 vcc, |v0|, s99
	s_nop 1
	v_cndmask_b32_e32 v0, 0, v1, vcc
	v_ldexp_f32 v1, v6, v7
	v_cmp_ngt_f32_e32 vcc, s63, v5
	v_add_f32_e32 v0, v4, v0
	s_nop 0
	v_cndmask_b32_e32 v1, 0, v1, vcc
	v_cmp_nlt_f32_e32 vcc, s98, v5
	s_nop 1
	v_cndmask_b32_e32 v1, v69, v1, vcc
	v_fma_f32 v0, v1, v0, v1
	v_cmp_class_f32_e64 vcc, v1, s2
	s_nop 1
	v_cndmask_b32_e32 v0, v0, v1, vcc
	v_trunc_f32_e32 v1, v77
	v_cmp_eq_f32_e32 vcc, v1, v77
	v_mul_f32_e32 v1, 0.5, v77
	v_trunc_f32_e32 v4, v1
	v_cmp_neq_f32_e64 s[70:71], v4, v1
	s_and_b64 s[70:71], vcc, s[70:71]
	s_nop 0
	v_cndmask_b32_e64 v1, 1.0, v78, s[70:71]
	v_bfi_b32 v0, s3, v0, v1
	v_cndmask_b32_e32 v1, v43, v0, vcc
	v_cmp_gt_f32_e32 vcc, 0, v78
	v_cndmask_b32_e64 v4, 0, v78, s[70:71]
	s_nop 0
	v_cndmask_b32_e32 v0, v0, v1, vcc
	v_cmp_eq_f32_e32 vcc, 0, v78
	s_xor_b64 s[24:25], s[80:81], vcc
	v_cndmask_b32_e64 v1, v69, 0, s[24:25]
	v_bfi_b32 v1, s3, v1, v4
	s_or_b64 vcc, vcc, s[8:9]
	v_cndmask_b32_e32 v0, v0, v1, vcc
	v_cmp_o_f32_e32 vcc, v78, v78
	s_add_i32 s8, s22, 1
	s_nop 0
	v_cndmask_b32_e32 v0, v43, v0, vcc
	v_mul_f32_e32 v0, v0, v76
	v_cmp_eq_u32_e32 vcc, s22, v27
	v_fmac_f32_e32 v44, v59, v0
	s_or_b64 s[86:87], vcc, s[86:87]
	s_mov_b32 s22, s8
	s_andn2_b64 exec, exec, s[86:87]
	s_cbranch_execz .LBB0_304
.LBB0_245:                              ;   Parent Loop BB0_225 Depth=1
                                        ; =>  This Loop Header: Depth=2
                                        ;       Child Loop BB0_252 Depth 3
                                        ;         Child Loop BB0_255 Depth 4
                                        ;         Child Loop BB0_259 Depth 4
                                        ;         Child Loop BB0_265 Depth 4
                                        ;         Child Loop BB0_269 Depth 4
                                        ;         Child Loop BB0_273 Depth 4
                                        ;         Child Loop BB0_277 Depth 4
                                        ;       Child Loop BB0_281 Depth 3
                                        ;       Child Loop BB0_285 Depth 3
	;; [unrolled: 1-line block ×6, first 2 shown]
	v_mov_b32_e32 v59, 0
	s_and_saveexec_b64 s[8:9], s[10:11]
	s_cbranch_execnz .LBB0_248
; %bb.246:                              ;   in Loop: Header=BB0_245 Depth=2
	s_or_b64 exec, exec, s[8:9]
	v_mov_b32_e32 v6, 1
	s_and_saveexec_b64 s[8:9], s[16:17]
	s_cbranch_execnz .LBB0_279
.LBB0_247:                              ;   in Loop: Header=BB0_245 Depth=2
	s_or_b64 exec, exec, s[8:9]
	s_cmp_lt_u32 s22, 2
	s_mov_b32 s23, 1
	s_cbranch_scc0 .LBB0_288
	s_branch .LBB0_295
.LBB0_248:                              ;   in Loop: Header=BB0_245 Depth=2
	v_lshl_add_u32 v0, s22, 2, v53
	v_mov_b32_e32 v59, 0
	s_mov_b32 s58, 0
	s_mov_b32 s23, -1
	s_mov_b64 s[24:25], 0
	v_mov_b32_e32 v1, v115
	v_mov_b32_e32 v60, v86
	s_branch .LBB0_252
.LBB0_249:                              ;   in Loop: Header=BB0_252 Depth=3
	s_or_b64 exec, exec, s[80:81]
.LBB0_250:                              ;   in Loop: Header=BB0_252 Depth=3
	s_or_b64 exec, exec, s[28:29]
.LBB0_251:                              ;   in Loop: Header=BB0_252 Depth=3
	s_or_b64 exec, exec, s[70:71]
	v_mul_lo_u32 v4, v4, s59
	v_sub_u32_e32 v7, 0, v4
	v_xor_b32_e32 v5, v61, v4
	v_max_i32_e32 v4, v4, v7
	v_cvt_f32_u32_e32 v7, v4
	v_sub_u32_e32 v6, 0, v61
	v_max_i32_e32 v6, v61, v6
	v_sub_u32_e32 v61, 0, v4
	v_rcp_iflag_f32_e32 v7, v7
	v_ashrrev_i32_e32 v5, 31, v5
	s_add_i32 s23, s23, 1
	v_add_u32_e32 v60, -1, v60
	v_mul_f32_e32 v7, 0x4f7ffffe, v7
	v_cvt_u32_f32_e32 v7, v7
	v_mul_lo_u32 v61, v61, v7
	v_mul_hi_u32 v61, v7, v61
	v_add_u32_e32 v7, v7, v61
	v_mul_hi_u32 v7, v6, v7
	v_mul_lo_u32 v61, v7, v4
	v_sub_u32_e32 v6, v6, v61
	v_cmp_ge_u32_e32 vcc, v6, v4
	v_add_u32_e32 v61, 1, v7
	s_nop 0
	v_cndmask_b32_e32 v7, v7, v61, vcc
	v_sub_u32_e32 v61, v6, v4
	v_cndmask_b32_e32 v6, v6, v61, vcc
	v_cmp_ge_u32_e32 vcc, v6, v4
	v_add_u32_e32 v4, 1, v7
	s_nop 0
	v_cndmask_b32_e32 v4, v7, v4, vcc
	v_xor_b32_e32 v4, v4, v5
	v_sub_u32_e32 v4, v4, v5
	v_cvt_f32_i32_e32 v61, v4
	v_cvt_f32_i32_e32 v4, v62
	v_cndmask_b32_e64 v88, v4, 1.0, s[14:15]
	v_cmp_neq_f32_e32 vcc, 0, v88
	v_cmp_gt_f32_e64 s[82:83], 0, v88
	s_nop 0
	v_cndmask_b32_e32 v89, 1.0, v17, vcc
	v_frexp_mant_f32_e64 v4, |v89|
	v_cmp_gt_f32_e32 vcc, s0, v4
	v_cmp_gt_f32_e64 s[80:81], 0, v89
	v_cmp_class_f32_e64 s[28:29], v89, s2
	v_cndmask_b32_e64 v5, 1.0, 2.0, vcc
	v_mul_f32_e32 v4, v4, v5
	v_add_f32_e32 v7, 1.0, v4
	v_rcp_f32_e32 v74, v7
	v_add_f32_e32 v5, -1.0, v7
	v_sub_f32_e32 v63, v4, v5
	v_add_f32_e32 v5, -1.0, v4
	v_mul_f32_e32 v75, v5, v74
	v_mul_f32_e32 v6, v7, v75
	v_fma_f32 v62, v75, v7, -v6
	v_fmac_f32_e32 v62, v75, v63
	v_add_f32_e32 v4, v6, v62
	v_sub_f32_e32 v7, v5, v4
	v_pk_add_f32 v[72:73], v[4:5], v[6:7] neg_lo:[0,1] neg_hi:[0,1]
	v_mov_b32_e32 v63, v4
	v_pk_add_f32 v[4:5], v[72:73], v[62:63] neg_lo:[0,1] neg_hi:[0,1]
	s_nop 0
	v_add_f32_e32 v4, v4, v5
	v_add_f32_e32 v4, v7, v4
	v_mul_f32_e32 v5, v74, v4
	v_add_f32_e32 v4, v75, v5
	v_sub_f32_e32 v6, v4, v75
	v_sub_f32_e32 v76, v5, v6
	v_mul_f32_e32 v5, v4, v4
	v_fma_f32 v7, v4, v4, -v5
	v_add_f32_e32 v6, v76, v76
	v_fmac_f32_e32 v7, v4, v6
	v_add_f32_e32 v6, v5, v7
	v_fmamk_f32 v62, v6, 0x3e76c4e1, v41
	v_fmaak_f32 v62, v6, v62, 0x3ecccdef
	v_sub_f32_e32 v5, v6, v5
	v_sub_f32_e32 v77, v7, v5
	v_mul_f32_e32 v5, v6, v62
	v_fma_f32 v7, v6, v62, -v5
	v_fmac_f32_e32 v7, v77, v62
	v_add_f32_e32 v62, v5, v7
	v_add_f32_e32 v63, 0x3f2aaaaa, v62
	v_sub_f32_e32 v5, v62, v5
	v_sub_f32_e32 v5, v7, v5
	v_add_f32_e32 v7, 0xbf2aaaaa, v63
	v_add_f32_e32 v5, 0x31739010, v5
	v_sub_f32_e32 v7, v62, v7
	v_pk_mul_f32 v[72:73], v[4:5], v[6:7]
	v_pk_add_f32 v[74:75], v[4:5], v[6:7]
	v_fma_f32 v62, v6, v4, -v72
	v_fmac_f32_e32 v62, v6, v76
	v_mov_b32_e32 v73, v75
	v_fmac_f32_e32 v62, v77, v4
	v_pk_add_f32 v[6:7], v[72:73], v[62:63]
	v_ldexp_f32 v78, v76, 1
	v_sub_f32_e32 v5, v6, v72
	v_sub_f32_e32 v5, v62, v5
	;; [unrolled: 1-line block ×3, first 2 shown]
	v_add_f32_e32 v73, v75, v62
	v_pk_mul_f32 v[62:63], v[6:7], v[6:7] op_sel:[0,1] op_sel_hi:[1,0]
	v_ldexp_f32 v75, v4, 1
	v_fma_f32 v72, v6, v7, -v62
	v_fmac_f32_e32 v72, v6, v73
	v_fmac_f32_e32 v72, v5, v7
	v_cvt_f64_f32_e64 v[6:7], |v89|
	v_frexp_exp_i32_f64_e32 v5, v[6:7]
	v_subbrev_co_u32_e32 v5, vcc, 0, v5, vcc
	v_cvt_f32_i32_e32 v5, v5
	v_add_f32_e32 v7, v62, v72
	v_mov_b32_e32 v76, v7
	v_mov_b32_e32 v63, v75
	v_mul_f32_e32 v6, 0x3f317218, v5
	v_fma_f32 v74, v5, s1, -v6
	v_fmac_f32_e32 v74, 0xb102e308, v5
	v_pk_add_f32 v[4:5], v[6:7], v[74:75]
	v_mov_b32_e32 v73, v7
	v_mov_b32_e32 v77, v5
	v_pk_add_f32 v[62:63], v[76:77], v[62:63] neg_lo:[0,1] neg_hi:[0,1]
	v_mov_b32_e32 v75, v4
	v_pk_add_f32 v[62:63], v[72:73], v[62:63] neg_lo:[0,1] neg_hi:[0,1]
	s_nop 0
	v_add_f32_e32 v7, v78, v62
	v_add_f32_e32 v7, v7, v63
	v_pk_add_f32 v[62:63], v[4:5], v[6:7] neg_lo:[0,1] neg_hi:[0,1]
	v_pk_add_f32 v[72:73], v[4:5], v[6:7]
	v_mov_b32_e32 v6, v7
	v_mov_b32_e32 v63, v73
	v_pk_add_f32 v[76:77], v[74:75], v[62:63] neg_lo:[0,1] neg_hi:[0,1]
	v_pk_add_f32 v[62:63], v[74:75], v[62:63]
	v_mov_b32_e32 v7, v4
	v_pk_add_f32 v[74:75], v[62:63], v[4:5] op_sel:[1,0] op_sel_hi:[0,1] neg_lo:[0,1] neg_hi:[0,1]
	v_pk_add_f32 v[78:79], v[72:73], v[74:75] op_sel_hi:[1,0] neg_lo:[0,1] neg_hi:[0,1]
	v_mov_b32_e32 v72, v73
	v_mov_b32_e32 v73, v63
	v_pk_mov_b32 v[74:75], v[4:5], v[74:75] op_sel:[1,0]
	v_mov_b32_e32 v78, v76
	v_pk_add_f32 v[72:73], v[72:73], v[74:75] neg_lo:[0,1] neg_hi:[0,1]
	v_mov_b32_e32 v77, v63
	v_pk_add_f32 v[4:5], v[6:7], v[72:73] neg_lo:[0,1] neg_hi:[0,1]
	s_nop 0
	v_pk_add_f32 v[6:7], v[78:79], v[4:5]
	s_nop 0
	v_pk_add_f32 v[72:73], v[6:7], v[6:7] op_sel:[0,1] op_sel_hi:[1,0]
	s_nop 0
	v_pk_add_f32 v[62:63], v[62:63], v[72:73] op_sel:[1,0] op_sel_hi:[0,1]
	v_mov_b32_e32 v7, v62
	v_pk_add_f32 v[74:75], v[6:7], v[76:77] neg_lo:[0,1] neg_hi:[0,1]
	v_mov_b32_e32 v5, v72
	v_sub_f32_e32 v6, v6, v74
	v_pk_add_f32 v[4:5], v[4:5], v[74:75] neg_lo:[0,1] neg_hi:[0,1]
	v_sub_f32_e32 v6, v76, v6
	v_add_f32_e32 v4, v4, v6
	v_add_f32_e32 v4, v4, v5
	;; [unrolled: 1-line block ×3, first 2 shown]
	v_sub_f32_e32 v6, v5, v62
	v_sub_f32_e32 v4, v4, v6
	v_mul_f32_e32 v6, v88, v5
	v_fma_f32 v5, v88, v5, -v6
	v_fmac_f32_e32 v5, v88, v4
	v_add_f32_e32 v4, v6, v5
	v_cmp_class_f32_e64 vcc, v6, s2
	v_sub_f32_e32 v7, v4, v6
	v_sub_f32_e32 v5, v5, v7
	v_cndmask_b32_e32 v4, v4, v6, vcc
	v_cmp_neq_f32_e64 vcc, |v4|, s99
	s_nop 1
	v_cndmask_b32_e32 v5, 0, v5, vcc
	v_cmp_eq_f32_e32 vcc, s98, v4
	s_nop 1
	v_cndmask_b32_e32 v6, 0, v42, vcc
	v_sub_f32_e32 v4, v4, v6
	v_add_f32_e32 v5, v6, v5
	v_mul_f32_e32 v6, 0x3fb8aa3b, v4
	v_fma_f32 v7, v4, s62, -v6
	v_rndne_f32_e32 v62, v6
	v_fmac_f32_e32 v7, 0x32a5705f, v4
	v_sub_f32_e32 v6, v6, v62
	v_add_f32_e32 v6, v6, v7
	v_exp_f32_e32 v6, v6
	v_cvt_i32_f32_e32 v7, v62
	v_cmp_ngt_f32_e32 vcc, s63, v4
	v_ldexp_f32 v6, v6, v7
	s_nop 0
	v_cndmask_b32_e32 v6, 0, v6, vcc
	v_cmp_nlt_f32_e32 vcc, s98, v4
	s_nop 1
	v_cndmask_b32_e32 v4, v69, v6, vcc
	v_fma_f32 v5, v4, v5, v4
	v_cmp_class_f32_e64 vcc, v4, s2
	s_nop 1
	v_cndmask_b32_e32 v4, v5, v4, vcc
	v_trunc_f32_e32 v5, v88
	v_cmp_eq_f32_e32 vcc, v5, v88
	v_mul_f32_e32 v5, 0.5, v88
	v_trunc_f32_e32 v6, v5
	v_cmp_neq_f32_e64 s[70:71], v6, v5
	s_and_b64 s[70:71], vcc, s[70:71]
	s_nop 0
	v_cndmask_b32_e64 v5, 1.0, v89, s[70:71]
	v_bfi_b32 v4, s3, v4, v5
	v_cndmask_b32_e32 v5, v43, v4, vcc
	v_cmp_eq_f32_e32 vcc, 0, v89
	v_cndmask_b32_e64 v4, v4, v5, s[80:81]
	s_or_b64 s[80:81], vcc, s[28:29]
	s_xor_b64 s[28:29], s[82:83], vcc
	v_cndmask_b32_e64 v5, v69, 0, s[28:29]
	v_cndmask_b32_e64 v6, 0, v89, s[70:71]
	v_bfi_b32 v5, s3, v5, v6
	v_mad_u64_u32 v[6:7], s[28:29], s58, 28, v[0:1]
	v_cndmask_b32_e64 v4, v4, v5, s[80:81]
	scratch_load_dword v5, v6, off
	v_cmp_o_f32_e32 vcc, v89, v89
	s_add_i32 s28, s58, 1
	v_add_u32_e32 v1, -1, v1
	v_cndmask_b32_e32 v4, v43, v4, vcc
	v_mul_f32_e32 v4, v4, v61
	v_cmp_eq_u32_e32 vcc, s58, v24
	s_or_b64 s[24:25], vcc, s[24:25]
	s_mov_b32 s58, s28
	s_waitcnt vmcnt(0)
	v_fmac_f32_e32 v59, v5, v4
	s_andn2_b64 exec, exec, s[24:25]
	s_cbranch_execz .LBB0_278
.LBB0_252:                              ;   Parent Loop BB0_225 Depth=1
                                        ;     Parent Loop BB0_245 Depth=2
                                        ; =>    This Loop Header: Depth=3
                                        ;         Child Loop BB0_255 Depth 4
                                        ;         Child Loop BB0_259 Depth 4
	;; [unrolled: 1-line block ×6, first 2 shown]
	v_mov_b32_e32 v61, 1
	s_and_saveexec_b64 s[70:71], s[12:13]
	s_cbranch_execz .LBB0_262
; %bb.253:                              ;   in Loop: Header=BB0_252 Depth=3
	s_mov_b64 vcc, -1
	v_mov_b32_e32 v4, 2
	v_mov_b32_e32 v61, 1
	s_and_saveexec_b64 s[80:81], s[94:95]
	s_cbranch_execz .LBB0_257
; %bb.254:                              ;   in Loop: Header=BB0_252 Depth=3
	s_mov_b32 s28, 1
	s_mov_b32 s59, 3
	;; [unrolled: 1-line block ×3, first 2 shown]
	s_mov_b64 s[96:97], 0
	v_mov_b32_e32 v61, v87
	s_mov_b32 s29, s28
	s_mov_b32 s82, s28
	;; [unrolled: 1-line block ×3, first 2 shown]
.LBB0_255:                              ;   Parent Loop BB0_225 Depth=1
                                        ;     Parent Loop BB0_245 Depth=2
                                        ;       Parent Loop BB0_252 Depth=3
                                        ; =>      This Inner Loop Header: Depth=4
	s_add_i32 s61, s60, 2
	s_add_i32 vcc_lo, s59, 2
	v_add_u32_e32 v61, -4, v61
	s_mul_i32 s29, s29, s59
	s_mul_i32 s28, s28, s60
	s_add_i32 s60, s60, 4
	s_add_i32 s59, s59, 4
	s_mul_i32 s83, s83, vcc_lo
	s_mul_i32 s82, s82, s61
	v_cmp_eq_u32_e32 vcc, 0, v61
	v_mov_b64_e32 v[4:5], s[28:29]
	s_or_b64 s[96:97], vcc, s[96:97]
	v_mov_b64_e32 v[6:7], s[82:83]
	s_andn2_b64 exec, exec, s[96:97]
	s_cbranch_execnz .LBB0_255
; %bb.256:                              ;   in Loop: Header=BB0_252 Depth=3
	s_or_b64 exec, exec, s[96:97]
	v_mul_lo_u32 v5, v7, v5
	v_mul_lo_u32 v4, v6, v4
	;; [unrolled: 1-line block ×3, first 2 shown]
	s_orn2_b64 vcc, s[30:31], exec
	v_mov_b32_e32 v4, v96
.LBB0_257:                              ;   in Loop: Header=BB0_252 Depth=3
	s_or_b64 exec, exec, s[80:81]
	s_and_saveexec_b64 s[28:29], vcc
	s_cbranch_execz .LBB0_261
; %bb.258:                              ;   in Loop: Header=BB0_252 Depth=3
	s_mov_b64 s[80:81], 0
.LBB0_259:                              ;   Parent Loop BB0_225 Depth=1
                                        ;     Parent Loop BB0_245 Depth=2
                                        ;       Parent Loop BB0_252 Depth=3
                                        ; =>      This Inner Loop Header: Depth=4
	v_mul_lo_u32 v61, v61, v4
	v_add_u32_e32 v4, 1, v4
	v_cmp_eq_u32_e32 vcc, v115, v4
	s_or_b64 s[80:81], vcc, s[80:81]
	s_andn2_b64 exec, exec, s[80:81]
	s_cbranch_execnz .LBB0_259
; %bb.260:                              ;   in Loop: Header=BB0_252 Depth=3
	s_or_b64 exec, exec, s[80:81]
.LBB0_261:                              ;   in Loop: Header=BB0_252 Depth=3
	s_or_b64 exec, exec, s[28:29]
.LBB0_262:                              ;   in Loop: Header=BB0_252 Depth=3
	s_or_b64 exec, exec, s[70:71]
	s_cmp_lt_u32 s58, 2
	s_mov_b32 s59, 1
	s_cbranch_scc1 .LBB0_270
; %bb.263:                              ;   in Loop: Header=BB0_252 Depth=3
	s_cmp_lt_u32 s58, 5
	s_cbranch_scc1 .LBB0_267
; %bb.264:                              ;   in Loop: Header=BB0_252 Depth=3
	s_and_b32 s29, s23, -4
	s_mov_b32 s28, 1
	s_mov_b32 s59, 3
	;; [unrolled: 1-line block ×4, first 2 shown]
	s_mov_b32 vcc_lo, 1
	s_mov_b32 vcc_hi, 1
.LBB0_265:                              ;   Parent Loop BB0_225 Depth=1
                                        ;     Parent Loop BB0_245 Depth=2
                                        ;       Parent Loop BB0_252 Depth=3
                                        ; =>      This Inner Loop Header: Depth=4
	s_add_i32 s70, s60, 2
	s_add_i32 s71, s59, 2
	s_mul_i32 s61, s61, s59
	s_mul_i32 s28, s28, s60
	s_add_i32 s60, s60, 4
	s_add_i32 s59, s59, 4
	s_add_i32 s29, s29, -4
	s_mul_i32 vcc_hi, vcc_hi, s71
	s_cmp_lg_u32 s29, 0
	s_mul_i32 vcc_lo, vcc_lo, s70
	s_cbranch_scc1 .LBB0_265
; %bb.266:                              ;   in Loop: Header=BB0_252 Depth=3
	s_add_i32 s29, s58, -1
	s_and_b32 s70, s29, -4
	s_or_b32 s60, s70, 2
	s_mul_i32 s59, vcc_hi, s61
	s_mul_i32 s28, vcc_lo, s28
	s_cmp_lg_u32 s29, s70
	s_mul_i32 s59, s28, s59
	s_cselect_b64 s[28:29], -1, 0
	s_and_b64 vcc, exec, s[28:29]
	s_cbranch_vccnz .LBB0_268
	s_branch .LBB0_270
.LBB0_267:                              ;   in Loop: Header=BB0_252 Depth=3
	s_mov_b32 s60, 2
	s_cbranch_execz .LBB0_270
.LBB0_268:                              ;   in Loop: Header=BB0_252 Depth=3
	s_add_i32 s28, s58, 1
.LBB0_269:                              ;   Parent Loop BB0_225 Depth=1
                                        ;     Parent Loop BB0_245 Depth=2
                                        ;       Parent Loop BB0_252 Depth=3
                                        ; =>      This Inner Loop Header: Depth=4
	s_mul_i32 s59, s59, s60
	s_add_i32 s60, s60, 1
	s_cmp_lg_u32 s28, s60
	s_cbranch_scc1 .LBB0_269
.LBB0_270:                              ;   in Loop: Header=BB0_252 Depth=3
	v_subrev_u32_e32 v62, s58, v24
	v_mov_b32_e32 v4, 1
	v_cmp_lt_i32_e32 vcc, 1, v62
	s_and_saveexec_b64 s[70:71], vcc
	s_cbranch_execz .LBB0_251
; %bb.271:                              ;   in Loop: Header=BB0_252 Depth=3
	v_subrev_u32_e32 v63, s58, v86
	v_cmp_lt_u32_e32 vcc, 3, v63
	s_mov_b64 s[82:83], -1
	v_mov_b32_e32 v72, 2
	v_mov_b32_e32 v4, 1
	s_and_saveexec_b64 s[80:81], vcc
	s_cbranch_execz .LBB0_275
; %bb.272:                              ;   in Loop: Header=BB0_252 Depth=3
	s_mov_b32 s82, 1
	v_and_b32_e32 v72, -4, v60
	s_mov_b32 s60, 3
	s_mov_b32 s61, 2
	s_mov_b64 s[96:97], 0
	s_mov_b32 s83, s82
	s_mov_b32 s28, s82
	;; [unrolled: 1-line block ×3, first 2 shown]
.LBB0_273:                              ;   Parent Loop BB0_225 Depth=1
                                        ;     Parent Loop BB0_245 Depth=2
                                        ;       Parent Loop BB0_252 Depth=3
                                        ; =>      This Inner Loop Header: Depth=4
	s_add_i32 vcc_lo, s61, 2
	s_add_i32 vcc_hi, s60, 2
	v_add_u32_e32 v72, -4, v72
	s_mul_i32 s83, s83, s60
	s_mul_i32 s82, s82, s61
	s_add_i32 s61, s61, 4
	s_add_i32 s60, s60, 4
	s_mul_i32 s29, s29, vcc_hi
	s_mul_i32 s28, s28, vcc_lo
	v_cmp_eq_u32_e32 vcc, 0, v72
	v_mov_b64_e32 v[4:5], s[82:83]
	s_or_b64 s[96:97], vcc, s[96:97]
	v_mov_b64_e32 v[6:7], s[28:29]
	s_andn2_b64 exec, exec, s[96:97]
	s_cbranch_execnz .LBB0_273
; %bb.274:                              ;   in Loop: Header=BB0_252 Depth=3
	s_or_b64 exec, exec, s[96:97]
	v_and_b32_e32 v73, -4, v63
	v_mul_lo_u32 v5, v7, v5
	v_mul_lo_u32 v4, v6, v4
	v_cmp_ne_u32_e32 vcc, v63, v73
	v_or_b32_e32 v72, 2, v73
	v_mul_lo_u32 v4, v4, v5
	s_orn2_b64 s[82:83], vcc, exec
.LBB0_275:                              ;   in Loop: Header=BB0_252 Depth=3
	s_or_b64 exec, exec, s[80:81]
	s_and_saveexec_b64 s[28:29], s[82:83]
	s_cbranch_execz .LBB0_250
; %bb.276:                              ;   in Loop: Header=BB0_252 Depth=3
	s_mov_b64 s[80:81], 0
.LBB0_277:                              ;   Parent Loop BB0_225 Depth=1
                                        ;     Parent Loop BB0_245 Depth=2
                                        ;       Parent Loop BB0_252 Depth=3
                                        ; =>      This Inner Loop Header: Depth=4
	v_mul_lo_u32 v4, v4, v72
	v_add_u32_e32 v72, 1, v72
	v_cmp_eq_u32_e32 vcc, v1, v72
	s_or_b64 s[80:81], vcc, s[80:81]
	s_andn2_b64 exec, exec, s[80:81]
	s_cbranch_execnz .LBB0_277
	s_branch .LBB0_249
.LBB0_278:                              ;   in Loop: Header=BB0_245 Depth=2
	s_or_b64 exec, exec, s[24:25]
	s_or_b64 exec, exec, s[8:9]
	v_mov_b32_e32 v6, 1
	s_and_saveexec_b64 s[8:9], s[16:17]
	s_cbranch_execz .LBB0_247
.LBB0_279:                              ;   in Loop: Header=BB0_245 Depth=2
	s_mov_b64 s[28:29], -1
	v_mov_b32_e32 v0, 2
	v_mov_b32_e32 v6, 1
	s_and_saveexec_b64 s[24:25], s[34:35]
	s_cbranch_execz .LBB0_283
; %bb.280:                              ;   in Loop: Header=BB0_245 Depth=2
	s_mov_b32 s70, 1
	s_mov_b32 s23, 3
	;; [unrolled: 1-line block ×3, first 2 shown]
	s_mov_b64 s[80:81], 0
	v_mov_b32_e32 v6, v97
	s_mov_b32 s71, s70
	s_mov_b32 s28, s70
	;; [unrolled: 1-line block ×3, first 2 shown]
.LBB0_281:                              ;   Parent Loop BB0_225 Depth=1
                                        ;     Parent Loop BB0_245 Depth=2
                                        ; =>    This Inner Loop Header: Depth=3
	s_add_i32 s59, s58, 2
	s_add_i32 s60, s23, 2
	v_add_u32_e32 v6, -4, v6
	s_mul_i32 s71, s71, s23
	s_mul_i32 s70, s70, s58
	s_add_i32 s58, s58, 4
	s_add_i32 s23, s23, 4
	s_mul_i32 s29, s29, s60
	s_mul_i32 s28, s28, s59
	v_cmp_eq_u32_e32 vcc, 0, v6
	v_mov_b64_e32 v[0:1], s[70:71]
	s_or_b64 s[80:81], vcc, s[80:81]
	v_mov_b64_e32 v[4:5], s[28:29]
	s_andn2_b64 exec, exec, s[80:81]
	s_cbranch_execnz .LBB0_281
; %bb.282:                              ;   in Loop: Header=BB0_245 Depth=2
	s_or_b64 exec, exec, s[80:81]
	v_mul_lo_u32 v1, v5, v1
	v_mul_lo_u32 v0, v4, v0
	;; [unrolled: 1-line block ×3, first 2 shown]
	s_orn2_b64 s[28:29], s[36:37], exec
	v_mov_b32_e32 v0, v98
.LBB0_283:                              ;   in Loop: Header=BB0_245 Depth=2
	s_or_b64 exec, exec, s[24:25]
	s_and_saveexec_b64 s[24:25], s[28:29]
	s_cbranch_execz .LBB0_287
; %bb.284:                              ;   in Loop: Header=BB0_245 Depth=2
	s_mov_b64 s[28:29], 0
.LBB0_285:                              ;   Parent Loop BB0_225 Depth=1
                                        ;     Parent Loop BB0_245 Depth=2
                                        ; =>    This Inner Loop Header: Depth=3
	v_mul_lo_u32 v6, v6, v0
	v_add_u32_e32 v0, 1, v0
	v_cmp_eq_u32_e32 vcc, v116, v0
	s_or_b64 s[28:29], vcc, s[28:29]
	s_andn2_b64 exec, exec, s[28:29]
	s_cbranch_execnz .LBB0_285
; %bb.286:                              ;   in Loop: Header=BB0_245 Depth=2
	s_or_b64 exec, exec, s[28:29]
.LBB0_287:                              ;   in Loop: Header=BB0_245 Depth=2
	s_or_b64 exec, exec, s[24:25]
	s_or_b64 exec, exec, s[8:9]
	s_cmp_lt_u32 s22, 2
	s_mov_b32 s23, 1
	s_cbranch_scc1 .LBB0_295
.LBB0_288:                              ;   in Loop: Header=BB0_245 Depth=2
	s_cmp_lt_u32 s22, 5
	s_cbranch_scc1 .LBB0_292
; %bb.289:                              ;   in Loop: Header=BB0_245 Depth=2
	s_and_b32 s9, s21, -4
	s_mov_b32 s8, 1
	s_mov_b32 s23, 3
	;; [unrolled: 1-line block ×6, first 2 shown]
.LBB0_290:                              ;   Parent Loop BB0_225 Depth=1
                                        ;     Parent Loop BB0_245 Depth=2
                                        ; =>    This Inner Loop Header: Depth=3
	s_add_i32 s58, s24, 2
	s_add_i32 s59, s23, 2
	s_mul_i32 s25, s25, s23
	s_mul_i32 s8, s8, s24
	s_add_i32 s24, s24, 4
	s_add_i32 s23, s23, 4
	s_add_i32 s9, s9, -4
	s_mul_i32 s29, s29, s59
	s_cmp_lg_u32 s9, 0
	s_mul_i32 s28, s28, s58
	s_cbranch_scc1 .LBB0_290
; %bb.291:                              ;   in Loop: Header=BB0_245 Depth=2
	s_add_i32 s9, s22, -1
	s_and_b32 s58, s9, -4
	s_or_b32 s24, s58, 2
	s_mul_i32 s23, s29, s25
	s_mul_i32 s8, s28, s8
	s_cmp_lg_u32 s9, s58
	s_mul_i32 s23, s8, s23
	s_cselect_b64 s[8:9], -1, 0
	s_and_b64 vcc, exec, s[8:9]
	s_cbranch_vccnz .LBB0_293
	s_branch .LBB0_295
.LBB0_292:                              ;   in Loop: Header=BB0_245 Depth=2
	s_mov_b32 s24, 2
	s_cbranch_execz .LBB0_295
.LBB0_293:                              ;   in Loop: Header=BB0_245 Depth=2
	s_add_i32 s8, s22, 1
.LBB0_294:                              ;   Parent Loop BB0_225 Depth=1
                                        ;     Parent Loop BB0_245 Depth=2
                                        ; =>    This Inner Loop Header: Depth=3
	s_mul_i32 s23, s23, s24
	s_add_i32 s24, s24, 1
	s_cmp_lg_u32 s8, s24
	s_cbranch_scc1 .LBB0_294
.LBB0_295:                              ;   in Loop: Header=BB0_245 Depth=2
	v_subrev_u32_e32 v7, s22, v27
	v_mov_b32_e32 v0, 1
	v_cmp_lt_i32_e32 vcc, 1, v7
	s_and_saveexec_b64 s[8:9], vcc
	s_cbranch_execz .LBB0_244
; %bb.296:                              ;   in Loop: Header=BB0_245 Depth=2
	v_subrev_u32_e32 v60, s22, v85
	v_cmp_lt_u32_e32 vcc, 3, v60
	s_mov_b64 s[28:29], -1
	v_mov_b32_e32 v61, 2
	v_mov_b32_e32 v0, 1
	s_and_saveexec_b64 s[24:25], vcc
	s_cbranch_execz .LBB0_300
; %bb.297:                              ;   in Loop: Header=BB0_245 Depth=2
	s_mov_b32 s70, 1
	v_and_b32_e32 v61, -4, v58
	s_mov_b32 s58, 3
	s_mov_b32 s59, 2
	s_mov_b64 s[80:81], 0
	s_mov_b32 s71, s70
	s_mov_b32 s28, s70
	;; [unrolled: 1-line block ×3, first 2 shown]
.LBB0_298:                              ;   Parent Loop BB0_225 Depth=1
                                        ;     Parent Loop BB0_245 Depth=2
                                        ; =>    This Inner Loop Header: Depth=3
	s_add_i32 s60, s59, 2
	s_add_i32 s61, s58, 2
	v_add_u32_e32 v61, -4, v61
	s_mul_i32 s71, s71, s58
	s_mul_i32 s70, s70, s59
	s_add_i32 s59, s59, 4
	s_add_i32 s58, s58, 4
	s_mul_i32 s29, s29, s61
	s_mul_i32 s28, s28, s60
	v_cmp_eq_u32_e32 vcc, 0, v61
	v_mov_b64_e32 v[0:1], s[70:71]
	s_or_b64 s[80:81], vcc, s[80:81]
	v_mov_b64_e32 v[4:5], s[28:29]
	s_andn2_b64 exec, exec, s[80:81]
	s_cbranch_execnz .LBB0_298
; %bb.299:                              ;   in Loop: Header=BB0_245 Depth=2
	s_or_b64 exec, exec, s[80:81]
	v_and_b32_e32 v62, -4, v60
	v_mul_lo_u32 v1, v5, v1
	v_mul_lo_u32 v0, v4, v0
	v_cmp_ne_u32_e32 vcc, v60, v62
	v_or_b32_e32 v61, 2, v62
	v_mul_lo_u32 v0, v0, v1
	s_orn2_b64 s[28:29], vcc, exec
.LBB0_300:                              ;   in Loop: Header=BB0_245 Depth=2
	s_or_b64 exec, exec, s[24:25]
	s_and_saveexec_b64 s[24:25], s[28:29]
	s_cbranch_execz .LBB0_243
; %bb.301:                              ;   in Loop: Header=BB0_245 Depth=2
	s_mov_b64 s[28:29], 0
.LBB0_302:                              ;   Parent Loop BB0_225 Depth=1
                                        ;     Parent Loop BB0_245 Depth=2
                                        ; =>    This Inner Loop Header: Depth=3
	v_mul_lo_u32 v0, v0, v61
	v_add_u32_e32 v61, 1, v61
	v_cmp_eq_u32_e32 vcc, v57, v61
	s_or_b64 s[28:29], vcc, s[28:29]
	s_andn2_b64 exec, exec, s[28:29]
	s_cbranch_execnz .LBB0_302
; %bb.303:                              ;   in Loop: Header=BB0_245 Depth=2
	s_or_b64 exec, exec, s[28:29]
	s_branch .LBB0_243
.LBB0_304:                              ;   in Loop: Header=BB0_225 Depth=1
	s_or_b64 exec, exec, s[86:87]
.LBB0_305:                              ;   in Loop: Header=BB0_225 Depth=1
	s_or_b64 exec, exec, s[4:5]
	v_mul_f32_e32 v0, v80, v56
	v_mul_f32_e32 v4, v52, v45
	v_cvt_f64_f32_e32 v[0:1], v0
	v_cvt_f64_f32_e32 v[4:5], v4
	v_fmac_f64_e32 v[0:1], 2.0, v[4:5]
	v_cvt_f32_f64_e32 v0, v[0:1]
	scratch_store_dword off, v51, s32 offset:176
	s_mov_b64 s[4:5], exec
	v_readlane_b32 s8, v92, 14
	v_readlane_b32 s9, v92, 15
	s_and_b64 s[8:9], s[4:5], s[8:9]
	s_mov_b64 exec, s[8:9]
	s_cbranch_execz .LBB0_307
; %bb.306:                              ;   in Loop: Header=BB0_225 Depth=1
	v_mul_f32_e32 v1, v51, v0
	scratch_store_dword off, v1, s32 offset:204
.LBB0_307:                              ;   in Loop: Header=BB0_225 Depth=1
	s_or_b64 exec, exec, s[4:5]
	v_mul_f32_e32 v1, v81, v56
	v_cvt_f64_f32_e32 v[4:5], v1
	v_mul_f32_e32 v1, v82, v45
	v_cvt_f64_f32_e32 v[6:7], v1
	v_fmac_f64_e32 v[4:5], 2.0, v[6:7]
	v_cvt_f32_f64_e32 v4, v[4:5]
	s_mov_b64 s[4:5], exec
	v_readlane_b32 s8, v92, 16
	v_readlane_b32 s9, v92, 17
	s_and_b64 s[8:9], s[4:5], s[8:9]
	s_mov_b64 exec, s[8:9]
	s_cbranch_execz .LBB0_309
; %bb.308:                              ;   in Loop: Header=BB0_225 Depth=1
	v_mul_f32_e32 v1, v51, v4
	scratch_store_dword off, v1, s32 offset:180
.LBB0_309:                              ;   in Loop: Header=BB0_225 Depth=1
	s_or_b64 exec, exec, s[4:5]
	s_mov_b64 s[4:5], exec
	v_readlane_b32 s8, v92, 12
	v_readlane_b32 s9, v92, 13
	s_and_b64 s[8:9], s[4:5], s[8:9]
	s_mov_b64 exec, s[8:9]
	s_cbranch_execz .LBB0_312
; %bb.310:                              ;   in Loop: Header=BB0_225 Depth=1
	scratch_load_dword v1, off, s32 offset:204
	s_add_i32 s8, s32, 0xb0
	s_mov_b32 s21, s8
	s_mov_b32 s22, 1
	s_mov_b64 s[8:9], 0
.LBB0_311:                              ;   Parent Loop BB0_225 Depth=1
                                        ; =>  This Inner Loop Header: Depth=2
	scratch_load_dword v6, off, s21
	v_cvt_f32_i32_e32 v5, s22
	s_add_i32 s22, s22, 1
	s_add_i32 s23, s21, 56
	;; [unrolled: 1-line block ×3, first 2 shown]
	v_mul_f32_e32 v5, v47, v5
	v_cmp_eq_u32_e32 vcc, s22, v64
	s_or_b64 s[8:9], vcc, s[8:9]
	s_waitcnt vmcnt(0)
	v_mul_f32_e32 v5, v6, v5
	v_fmac_f32_e32 v5, v1, v0
	v_mov_b32_e32 v1, v5
	scratch_store_dword off, v5, s23
	s_andn2_b64 exec, exec, s[8:9]
	s_cbranch_execnz .LBB0_311
.LBB0_312:                              ;   in Loop: Header=BB0_225 Depth=1
	s_or_b64 exec, exec, s[4:5]
	s_and_saveexec_b64 s[4:5], s[26:27]
	s_cbranch_execz .LBB0_315
; %bb.313:                              ;   in Loop: Header=BB0_225 Depth=1
	scratch_load_dword v0, off, s32 offset:180
	s_add_i32 s8, s32, 0xb0
	s_mov_b32 s21, s8
	s_mov_b32 s22, 1
	s_mov_b64 s[8:9], 0
.LBB0_314:                              ;   Parent Loop BB0_225 Depth=1
                                        ; =>  This Inner Loop Header: Depth=2
	scratch_load_dword v5, off, s21
	v_cvt_f32_i32_e32 v1, s22
	s_add_i32 s22, s22, 1
	s_add_i32 s23, s21, 8
	;; [unrolled: 1-line block ×3, first 2 shown]
	v_mul_f32_e32 v1, v46, v1
	v_cmp_eq_u32_e32 vcc, s22, v71
	s_or_b64 s[8:9], vcc, s[8:9]
	s_waitcnt vmcnt(0)
	v_mul_f32_e32 v1, v5, v1
	v_fmac_f32_e32 v1, v0, v4
	v_mov_b32_e32 v0, v1
	scratch_store_dword off, v1, s23
	s_andn2_b64 exec, exec, s[8:9]
	s_cbranch_execnz .LBB0_314
.LBB0_315:                              ;   in Loop: Header=BB0_225 Depth=1
	s_or_b64 exec, exec, s[4:5]
	s_mov_b64 s[4:5], exec
	v_readlane_b32 s8, v92, 18
	v_readlane_b32 s9, v92, 19
	s_and_b64 s[8:9], s[4:5], s[8:9]
	s_mov_b64 exec, s[8:9]
	s_cbranch_execz .LBB0_321
; %bb.316:                              ;   in Loop: Header=BB0_225 Depth=1
	s_mov_b32 s22, 1
	s_mov_b64 s[8:9], 0
	s_mov_b32 s21, s75
	s_branch .LBB0_318
.LBB0_317:                              ;   in Loop: Header=BB0_318 Depth=2
	s_or_b64 exec, exec, s[24:25]
	s_add_i32 s23, s22, 1
	s_add_i32 s21, s21, 28
	v_cmp_eq_u32_e32 vcc, s22, v64
	s_or_b64 s[8:9], vcc, s[8:9]
	s_mov_b32 s22, s23
	s_andn2_b64 exec, exec, s[8:9]
	s_cbranch_execz .LBB0_321
.LBB0_318:                              ;   Parent Loop BB0_225 Depth=1
                                        ; =>  This Loop Header: Depth=2
                                        ;       Child Loop BB0_320 Depth 3
	s_mul_i32 s23, s22, 28
	s_add_i32 s24, s32, s23
	s_add_i32 s23, s24, 0xb0
	;; [unrolled: 1-line block ×3, first 2 shown]
	scratch_load_dword v1, off, s23
	scratch_load_dword v6, off, s24
	v_cvt_f32_u32_e32 v0, s22
	v_mul_f32_e32 v0, v45, v0
	s_waitcnt vmcnt(1)
	v_mul_f32_e32 v5, v1, v4
	s_waitcnt vmcnt(0)
	v_fmac_f32_e32 v5, v6, v0
	scratch_store_dword off, v5, s23 offset:4
	s_and_saveexec_b64 s[24:25], s[26:27]
	s_cbranch_execz .LBB0_317
; %bb.319:                              ;   in Loop: Header=BB0_318 Depth=2
	s_mov_b32 s23, 1
	s_mov_b64 s[70:71], 0
	s_mov_b32 s28, s21
.LBB0_320:                              ;   Parent Loop BB0_225 Depth=1
                                        ;     Parent Loop BB0_318 Depth=2
                                        ; =>    This Inner Loop Header: Depth=3
	s_add_i32 s29, s28, -8
	s_add_i32 s58, s28, 0xffffffe0
	scratch_load_dword v7, off, s29
	scratch_load_dword v6, off, s58
	v_cvt_f32_i32_e32 v1, s23
	s_add_i32 s23, s23, 1
	v_cmp_eq_u32_e32 vcc, s23, v71
	v_mul_f32_e32 v1, v46, v1
	s_waitcnt vmcnt(0)
	v_pk_mul_f32 v[6:7], v[0:1], v[6:7]
	s_nop 0
	v_add_f32_e32 v1, v6, v7
	v_fmac_f32_e32 v1, v5, v4
	scratch_store_dword off, v1, s28
	s_add_i32 s28, s28, 4
	s_or_b64 s[70:71], vcc, s[70:71]
	v_mov_b32_e32 v5, v1
	s_andn2_b64 exec, exec, s[70:71]
	s_cbranch_execnz .LBB0_320
	s_branch .LBB0_317
.LBB0_321:                              ;   in Loop: Header=BB0_225 Depth=1
	s_or_b64 exec, exec, s[4:5]
	v_mov_b32_e32 v57, 0
	s_mov_b64 s[4:5], exec
	v_readlane_b32 s8, v92, 20
	v_readlane_b32 s9, v92, 21
	s_and_b64 s[8:9], s[4:5], s[8:9]
	s_mov_b64 exec, s[8:9]
	s_cbranch_execz .LBB0_385
; %bb.322:                              ;   in Loop: Header=BB0_225 Depth=1
	v_mov_b32_e32 v57, 0
	s_mov_b32 s22, 0
	s_mov_b32 s21, -1
	s_mov_b64 s[86:87], 0
	v_mov_b32_e32 v58, v118
	v_mov_b32_e32 v59, v65
	s_branch .LBB0_325
.LBB0_323:                              ;   in Loop: Header=BB0_325 Depth=2
	s_or_b64 exec, exec, s[24:25]
.LBB0_324:                              ;   in Loop: Header=BB0_325 Depth=2
	s_or_b64 exec, exec, s[8:9]
	v_mul_lo_u32 v0, v0, s23
	v_sub_u32_e32 v1, 0, v0
	v_max_i32_e32 v1, v0, v1
	v_cvt_f32_u32_e32 v4, v1
	v_sub_u32_e32 v5, 0, v6
	v_xor_b32_e32 v0, v6, v0
	v_max_i32_e32 v5, v6, v5
	v_rcp_iflag_f32_e32 v4, v4
	v_sub_u32_e32 v6, 0, v1
	v_ashrrev_i32_e32 v0, 31, v0
	s_add_i32 s21, s21, 1
	v_mul_f32_e32 v4, 0x4f7ffffe, v4
	v_cvt_u32_f32_e32 v4, v4
	v_add_u32_e32 v59, -1, v59
	v_add_u32_e32 v58, -1, v58
	v_mul_lo_u32 v6, v6, v4
	v_mul_hi_u32 v6, v4, v6
	v_add_u32_e32 v4, v4, v6
	v_mul_hi_u32 v4, v5, v4
	v_mul_lo_u32 v6, v4, v1
	v_sub_u32_e32 v5, v5, v6
	v_add_u32_e32 v61, 1, v4
	v_cmp_ge_u32_e32 vcc, v5, v1
	v_sub_u32_e32 v6, v5, v1
	s_nop 0
	v_cndmask_b32_e32 v4, v4, v61, vcc
	v_cndmask_b32_e32 v5, v5, v6, vcc
	v_add_u32_e32 v6, 1, v4
	v_cmp_ge_u32_e32 vcc, v5, v1
	s_nop 1
	v_cndmask_b32_e32 v1, v4, v6, vcc
	v_cvt_f32_i32_e32 v4, v7
	v_xor_b32_e32 v1, v1, v0
	v_sub_u32_e32 v0, v1, v0
	v_cvt_f32_i32_e32 v61, v0
	v_cndmask_b32_e64 v78, v4, 1.0, s[56:57]
	v_cmp_neq_f32_e32 vcc, 0, v78
	v_cmp_gt_f32_e64 s[80:81], 0, v78
	s_nop 0
	v_cndmask_b32_e32 v79, 1.0, v55, vcc
	v_frexp_mant_f32_e64 v0, |v79|
	v_cmp_gt_f32_e32 vcc, s0, v0
	v_cmp_class_f32_e64 s[8:9], v79, s2
	s_nop 0
	v_cndmask_b32_e64 v1, 1.0, 2.0, vcc
	v_mul_f32_e32 v0, v0, v1
	v_add_f32_e32 v5, 1.0, v0
	v_rcp_f32_e32 v72, v5
	v_add_f32_e32 v1, -1.0, v5
	v_sub_f32_e32 v7, v0, v1
	v_add_f32_e32 v1, -1.0, v0
	v_mul_f32_e32 v73, v1, v72
	v_mul_f32_e32 v4, v5, v73
	v_fma_f32 v6, v73, v5, -v4
	v_fmac_f32_e32 v6, v73, v7
	v_add_f32_e32 v0, v4, v6
	v_sub_f32_e32 v5, v1, v0
	v_pk_add_f32 v[62:63], v[0:1], v[4:5] neg_lo:[0,1] neg_hi:[0,1]
	v_mov_b32_e32 v7, v0
	v_pk_add_f32 v[0:1], v[62:63], v[6:7] neg_lo:[0,1] neg_hi:[0,1]
	s_nop 0
	v_add_f32_e32 v0, v0, v1
	v_add_f32_e32 v0, v5, v0
	v_mul_f32_e32 v1, v72, v0
	v_add_f32_e32 v0, v73, v1
	v_sub_f32_e32 v4, v0, v73
	v_sub_f32_e32 v74, v1, v4
	v_mul_f32_e32 v1, v0, v0
	v_fma_f32 v5, v0, v0, -v1
	v_add_f32_e32 v4, v74, v74
	v_fmac_f32_e32 v5, v0, v4
	v_add_f32_e32 v4, v1, v5
	v_fmamk_f32 v6, v4, 0x3e76c4e1, v41
	v_fmaak_f32 v6, v4, v6, 0x3ecccdef
	v_sub_f32_e32 v1, v4, v1
	v_sub_f32_e32 v75, v5, v1
	v_mul_f32_e32 v1, v4, v6
	v_fma_f32 v5, v4, v6, -v1
	v_fmac_f32_e32 v5, v75, v6
	v_add_f32_e32 v6, v1, v5
	v_add_f32_e32 v7, 0x3f2aaaaa, v6
	v_sub_f32_e32 v1, v6, v1
	v_sub_f32_e32 v1, v5, v1
	v_add_f32_e32 v5, 0xbf2aaaaa, v7
	v_add_f32_e32 v1, 0x31739010, v1
	v_sub_f32_e32 v5, v6, v5
	v_pk_mul_f32 v[62:63], v[0:1], v[4:5]
	v_pk_add_f32 v[72:73], v[0:1], v[4:5]
	v_fma_f32 v6, v4, v0, -v62
	v_fmac_f32_e32 v6, v4, v74
	v_mov_b32_e32 v63, v73
	v_fmac_f32_e32 v6, v75, v0
	v_pk_add_f32 v[4:5], v[62:63], v[6:7]
	v_ldexp_f32 v76, v74, 1
	v_sub_f32_e32 v1, v4, v62
	v_sub_f32_e32 v1, v6, v1
	;; [unrolled: 1-line block ×3, first 2 shown]
	v_add_f32_e32 v72, v73, v6
	v_pk_mul_f32 v[6:7], v[4:5], v[4:5] op_sel:[0,1] op_sel_hi:[1,0]
	v_cvt_f64_f32_e64 v[62:63], |v79|
	v_frexp_exp_i32_f64_e32 v7, v[62:63]
	v_subbrev_co_u32_e32 v7, vcc, 0, v7, vcc
	v_cvt_f32_i32_e32 v7, v7
	v_fma_f32 v62, v4, v5, -v6
	v_fmac_f32_e32 v62, v4, v72
	v_fmac_f32_e32 v62, v1, v5
	v_mul_f32_e32 v4, 0x3f317218, v7
	v_fma_f32 v72, v7, s1, -v4
	v_fmac_f32_e32 v72, 0xb102e308, v7
	v_ldexp_f32 v73, v0, 1
	v_add_f32_e32 v5, v6, v62
	v_pk_add_f32 v[0:1], v[4:5], v[72:73]
	v_mov_b32_e32 v74, v5
	v_mov_b32_e32 v75, v1
	;; [unrolled: 1-line block ×3, first 2 shown]
	v_pk_add_f32 v[6:7], v[74:75], v[6:7] neg_lo:[0,1] neg_hi:[0,1]
	v_mov_b32_e32 v63, v5
	v_pk_add_f32 v[6:7], v[62:63], v[6:7] neg_lo:[0,1] neg_hi:[0,1]
	v_mov_b32_e32 v73, v0
	v_add_f32_e32 v5, v76, v6
	v_add_f32_e32 v5, v5, v7
	v_pk_add_f32 v[6:7], v[0:1], v[4:5] neg_lo:[0,1] neg_hi:[0,1]
	v_pk_add_f32 v[62:63], v[0:1], v[4:5]
	v_mov_b32_e32 v4, v5
	v_mov_b32_e32 v7, v63
	v_pk_add_f32 v[74:75], v[72:73], v[6:7] neg_lo:[0,1] neg_hi:[0,1]
	v_pk_add_f32 v[6:7], v[72:73], v[6:7]
	v_mov_b32_e32 v5, v0
	v_pk_add_f32 v[72:73], v[6:7], v[0:1] op_sel:[1,0] op_sel_hi:[0,1] neg_lo:[0,1] neg_hi:[0,1]
	v_pk_add_f32 v[76:77], v[62:63], v[72:73] op_sel_hi:[1,0] neg_lo:[0,1] neg_hi:[0,1]
	v_mov_b32_e32 v62, v63
	v_mov_b32_e32 v63, v7
	v_pk_mov_b32 v[72:73], v[0:1], v[72:73] op_sel:[1,0]
	v_mov_b32_e32 v76, v74
	v_pk_add_f32 v[62:63], v[62:63], v[72:73] neg_lo:[0,1] neg_hi:[0,1]
	v_mov_b32_e32 v75, v7
	v_pk_add_f32 v[0:1], v[4:5], v[62:63] neg_lo:[0,1] neg_hi:[0,1]
	s_nop 0
	v_pk_add_f32 v[4:5], v[76:77], v[0:1]
	s_nop 0
	v_pk_add_f32 v[62:63], v[4:5], v[4:5] op_sel:[0,1] op_sel_hi:[1,0]
	s_nop 0
	v_pk_add_f32 v[6:7], v[6:7], v[62:63] op_sel:[1,0] op_sel_hi:[0,1]
	v_mov_b32_e32 v5, v6
	v_pk_add_f32 v[72:73], v[4:5], v[74:75] neg_lo:[0,1] neg_hi:[0,1]
	v_mov_b32_e32 v1, v62
	v_sub_f32_e32 v4, v4, v72
	v_pk_add_f32 v[0:1], v[0:1], v[72:73] neg_lo:[0,1] neg_hi:[0,1]
	v_sub_f32_e32 v4, v74, v4
	v_add_f32_e32 v0, v0, v4
	v_add_f32_e32 v0, v0, v1
	;; [unrolled: 1-line block ×3, first 2 shown]
	v_sub_f32_e32 v4, v1, v6
	v_sub_f32_e32 v0, v0, v4
	v_mul_f32_e32 v4, v78, v1
	v_fma_f32 v1, v78, v1, -v4
	v_fmac_f32_e32 v1, v78, v0
	v_add_f32_e32 v0, v4, v1
	v_cmp_class_f32_e64 vcc, v4, s2
	v_sub_f32_e32 v5, v0, v4
	v_sub_f32_e32 v1, v1, v5
	v_cndmask_b32_e32 v0, v0, v4, vcc
	v_cmp_eq_f32_e32 vcc, s98, v0
	s_nop 1
	v_cndmask_b32_e32 v4, 0, v42, vcc
	v_sub_f32_e32 v5, v0, v4
	v_mul_f32_e32 v6, 0x3fb8aa3b, v5
	v_fma_f32 v7, v5, s62, -v6
	v_rndne_f32_e32 v62, v6
	v_fmac_f32_e32 v7, 0x32a5705f, v5
	v_sub_f32_e32 v6, v6, v62
	v_add_f32_e32 v6, v6, v7
	v_exp_f32_e32 v6, v6
	v_cvt_i32_f32_e32 v7, v62
	v_cmp_neq_f32_e64 vcc, |v0|, s99
	s_nop 1
	v_cndmask_b32_e32 v0, 0, v1, vcc
	v_ldexp_f32 v1, v6, v7
	v_cmp_ngt_f32_e32 vcc, s63, v5
	v_add_f32_e32 v0, v4, v0
	s_nop 0
	v_cndmask_b32_e32 v1, 0, v1, vcc
	v_cmp_nlt_f32_e32 vcc, s98, v5
	s_nop 1
	v_cndmask_b32_e32 v1, v69, v1, vcc
	v_fma_f32 v0, v1, v0, v1
	v_cmp_class_f32_e64 vcc, v1, s2
	s_nop 1
	v_cndmask_b32_e32 v0, v0, v1, vcc
	v_trunc_f32_e32 v1, v78
	v_cmp_eq_f32_e32 vcc, v1, v78
	v_mul_f32_e32 v1, 0.5, v78
	v_trunc_f32_e32 v4, v1
	v_cmp_neq_f32_e64 s[70:71], v4, v1
	s_and_b64 s[70:71], vcc, s[70:71]
	s_nop 0
	v_cndmask_b32_e64 v1, 1.0, v79, s[70:71]
	v_bfi_b32 v0, s3, v0, v1
	v_cndmask_b32_e32 v1, v43, v0, vcc
	v_cmp_gt_f32_e32 vcc, 0, v79
	v_cndmask_b32_e64 v4, 0, v79, s[70:71]
	s_nop 0
	v_cndmask_b32_e32 v0, v0, v1, vcc
	v_cmp_eq_f32_e32 vcc, 0, v79
	s_xor_b64 s[24:25], s[80:81], vcc
	v_cndmask_b32_e64 v1, v69, 0, s[24:25]
	v_bfi_b32 v1, s3, v1, v4
	s_or_b64 vcc, vcc, s[8:9]
	v_cndmask_b32_e32 v0, v0, v1, vcc
	v_cmp_o_f32_e32 vcc, v79, v79
	s_add_i32 s8, s22, 1
	s_nop 0
	v_cndmask_b32_e32 v0, v43, v0, vcc
	v_mul_f32_e32 v0, v0, v61
	v_cmp_eq_u32_e32 vcc, s22, v28
	v_fmac_f32_e32 v57, v60, v0
	s_or_b64 s[86:87], vcc, s[86:87]
	s_mov_b32 s22, s8
	s_andn2_b64 exec, exec, s[86:87]
	s_cbranch_execz .LBB0_384
.LBB0_325:                              ;   Parent Loop BB0_225 Depth=1
                                        ; =>  This Loop Header: Depth=2
                                        ;       Child Loop BB0_332 Depth 3
                                        ;         Child Loop BB0_335 Depth 4
                                        ;         Child Loop BB0_339 Depth 4
	;; [unrolled: 1-line block ×6, first 2 shown]
                                        ;       Child Loop BB0_361 Depth 3
                                        ;       Child Loop BB0_365 Depth 3
	;; [unrolled: 1-line block ×6, first 2 shown]
	v_mov_b32_e32 v60, 0
	s_and_saveexec_b64 s[8:9], s[40:41]
	s_cbranch_execnz .LBB0_328
; %bb.326:                              ;   in Loop: Header=BB0_325 Depth=2
	s_or_b64 exec, exec, s[8:9]
	v_mov_b32_e32 v6, 1
	s_and_saveexec_b64 s[8:9], s[46:47]
	s_cbranch_execnz .LBB0_359
.LBB0_327:                              ;   in Loop: Header=BB0_325 Depth=2
	s_or_b64 exec, exec, s[8:9]
	s_cmp_lt_u32 s22, 2
	s_mov_b32 s23, 1
	s_cbranch_scc0 .LBB0_368
	s_branch .LBB0_375
.LBB0_328:                              ;   in Loop: Header=BB0_325 Depth=2
	v_lshl_add_u32 v0, s22, 2, v39
	v_mov_b32_e32 v60, 0
	s_mov_b32 s58, 0
	s_mov_b32 s23, -1
	s_mov_b64 s[24:25], 0
	v_mov_b32_e32 v1, v117
	v_mov_b32_e32 v61, v84
	s_branch .LBB0_332
.LBB0_329:                              ;   in Loop: Header=BB0_332 Depth=3
	s_or_b64 exec, exec, s[80:81]
.LBB0_330:                              ;   in Loop: Header=BB0_332 Depth=3
	s_or_b64 exec, exec, s[28:29]
.LBB0_331:                              ;   in Loop: Header=BB0_332 Depth=3
	s_or_b64 exec, exec, s[70:71]
	v_mul_lo_u32 v4, v4, s59
	v_sub_u32_e32 v7, 0, v4
	v_xor_b32_e32 v5, v62, v4
	v_max_i32_e32 v4, v4, v7
	v_cvt_f32_u32_e32 v7, v4
	v_sub_u32_e32 v6, 0, v62
	v_max_i32_e32 v6, v62, v6
	v_sub_u32_e32 v62, 0, v4
	v_rcp_iflag_f32_e32 v7, v7
	v_ashrrev_i32_e32 v5, 31, v5
	s_add_i32 s23, s23, 1
	v_add_u32_e32 v61, -1, v61
	v_mul_f32_e32 v7, 0x4f7ffffe, v7
	v_cvt_u32_f32_e32 v7, v7
	v_mul_lo_u32 v62, v62, v7
	v_mul_hi_u32 v62, v7, v62
	v_add_u32_e32 v7, v7, v62
	v_mul_hi_u32 v7, v6, v7
	v_mul_lo_u32 v62, v7, v4
	v_sub_u32_e32 v6, v6, v62
	v_cmp_ge_u32_e32 vcc, v6, v4
	v_add_u32_e32 v62, 1, v7
	s_nop 0
	v_cndmask_b32_e32 v7, v7, v62, vcc
	v_sub_u32_e32 v62, v6, v4
	v_cndmask_b32_e32 v6, v6, v62, vcc
	v_cmp_ge_u32_e32 vcc, v6, v4
	v_add_u32_e32 v4, 1, v7
	s_nop 0
	v_cndmask_b32_e32 v4, v7, v4, vcc
	v_xor_b32_e32 v4, v4, v5
	v_sub_u32_e32 v4, v4, v5
	v_cvt_f32_i32_e32 v88, v4
	v_cvt_f32_i32_e32 v4, v63
	v_cndmask_b32_e64 v89, v4, 1.0, s[44:45]
	v_cmp_neq_f32_e32 vcc, 0, v89
	v_cmp_gt_f32_e64 s[82:83], 0, v89
	s_nop 0
	v_cndmask_b32_e32 v90, 1.0, v54, vcc
	v_frexp_mant_f32_e64 v4, |v90|
	v_cmp_gt_f32_e32 vcc, s0, v4
	v_cmp_gt_f32_e64 s[80:81], 0, v90
	v_cmp_class_f32_e64 s[28:29], v90, s2
	v_cndmask_b32_e64 v5, 1.0, 2.0, vcc
	v_mul_f32_e32 v4, v4, v5
	v_add_f32_e32 v7, 1.0, v4
	v_rcp_f32_e32 v74, v7
	v_add_f32_e32 v5, -1.0, v7
	v_sub_f32_e32 v63, v4, v5
	v_add_f32_e32 v5, -1.0, v4
	v_mul_f32_e32 v75, v5, v74
	v_mul_f32_e32 v6, v7, v75
	v_fma_f32 v62, v75, v7, -v6
	v_fmac_f32_e32 v62, v75, v63
	v_add_f32_e32 v4, v6, v62
	v_sub_f32_e32 v7, v5, v4
	v_pk_add_f32 v[72:73], v[4:5], v[6:7] neg_lo:[0,1] neg_hi:[0,1]
	v_mov_b32_e32 v63, v4
	v_pk_add_f32 v[4:5], v[72:73], v[62:63] neg_lo:[0,1] neg_hi:[0,1]
	s_nop 0
	v_add_f32_e32 v4, v4, v5
	v_add_f32_e32 v4, v7, v4
	v_mul_f32_e32 v5, v74, v4
	v_add_f32_e32 v4, v75, v5
	v_sub_f32_e32 v6, v4, v75
	v_sub_f32_e32 v76, v5, v6
	v_mul_f32_e32 v5, v4, v4
	v_fma_f32 v7, v4, v4, -v5
	v_add_f32_e32 v6, v76, v76
	v_fmac_f32_e32 v7, v4, v6
	v_add_f32_e32 v6, v5, v7
	v_fmamk_f32 v62, v6, 0x3e76c4e1, v41
	v_fmaak_f32 v62, v6, v62, 0x3ecccdef
	v_sub_f32_e32 v5, v6, v5
	v_sub_f32_e32 v77, v7, v5
	v_mul_f32_e32 v5, v6, v62
	v_fma_f32 v7, v6, v62, -v5
	v_fmac_f32_e32 v7, v77, v62
	v_add_f32_e32 v62, v5, v7
	v_add_f32_e32 v63, 0x3f2aaaaa, v62
	v_sub_f32_e32 v5, v62, v5
	v_sub_f32_e32 v5, v7, v5
	v_add_f32_e32 v7, 0xbf2aaaaa, v63
	v_add_f32_e32 v5, 0x31739010, v5
	v_sub_f32_e32 v7, v62, v7
	v_pk_mul_f32 v[72:73], v[4:5], v[6:7]
	v_pk_add_f32 v[74:75], v[4:5], v[6:7]
	v_fma_f32 v62, v6, v4, -v72
	v_fmac_f32_e32 v62, v6, v76
	v_mov_b32_e32 v73, v75
	v_fmac_f32_e32 v62, v77, v4
	v_pk_add_f32 v[6:7], v[72:73], v[62:63]
	v_ldexp_f32 v78, v76, 1
	v_sub_f32_e32 v5, v6, v72
	v_sub_f32_e32 v5, v62, v5
	;; [unrolled: 1-line block ×3, first 2 shown]
	v_add_f32_e32 v73, v75, v62
	v_pk_mul_f32 v[62:63], v[6:7], v[6:7] op_sel:[0,1] op_sel_hi:[1,0]
	v_ldexp_f32 v75, v4, 1
	v_fma_f32 v72, v6, v7, -v62
	v_fmac_f32_e32 v72, v6, v73
	v_fmac_f32_e32 v72, v5, v7
	v_cvt_f64_f32_e64 v[6:7], |v90|
	v_frexp_exp_i32_f64_e32 v5, v[6:7]
	v_subbrev_co_u32_e32 v5, vcc, 0, v5, vcc
	v_cvt_f32_i32_e32 v5, v5
	v_add_f32_e32 v7, v62, v72
	v_mov_b32_e32 v76, v7
	v_mov_b32_e32 v63, v75
	v_mul_f32_e32 v6, 0x3f317218, v5
	v_fma_f32 v74, v5, s1, -v6
	v_fmac_f32_e32 v74, 0xb102e308, v5
	v_pk_add_f32 v[4:5], v[6:7], v[74:75]
	v_mov_b32_e32 v73, v7
	v_mov_b32_e32 v77, v5
	v_pk_add_f32 v[62:63], v[76:77], v[62:63] neg_lo:[0,1] neg_hi:[0,1]
	v_mov_b32_e32 v75, v4
	v_pk_add_f32 v[62:63], v[72:73], v[62:63] neg_lo:[0,1] neg_hi:[0,1]
	s_nop 0
	v_add_f32_e32 v7, v78, v62
	v_add_f32_e32 v7, v7, v63
	v_pk_add_f32 v[62:63], v[4:5], v[6:7] neg_lo:[0,1] neg_hi:[0,1]
	v_pk_add_f32 v[72:73], v[4:5], v[6:7]
	v_mov_b32_e32 v6, v7
	v_mov_b32_e32 v63, v73
	v_pk_add_f32 v[76:77], v[74:75], v[62:63] neg_lo:[0,1] neg_hi:[0,1]
	v_pk_add_f32 v[62:63], v[74:75], v[62:63]
	v_mov_b32_e32 v7, v4
	v_pk_add_f32 v[74:75], v[62:63], v[4:5] op_sel:[1,0] op_sel_hi:[0,1] neg_lo:[0,1] neg_hi:[0,1]
	v_pk_add_f32 v[78:79], v[72:73], v[74:75] op_sel_hi:[1,0] neg_lo:[0,1] neg_hi:[0,1]
	v_mov_b32_e32 v72, v73
	v_mov_b32_e32 v73, v63
	v_pk_mov_b32 v[74:75], v[4:5], v[74:75] op_sel:[1,0]
	v_mov_b32_e32 v78, v76
	v_pk_add_f32 v[72:73], v[72:73], v[74:75] neg_lo:[0,1] neg_hi:[0,1]
	v_mov_b32_e32 v77, v63
	v_pk_add_f32 v[4:5], v[6:7], v[72:73] neg_lo:[0,1] neg_hi:[0,1]
	s_nop 0
	v_pk_add_f32 v[6:7], v[78:79], v[4:5]
	s_nop 0
	v_pk_add_f32 v[72:73], v[6:7], v[6:7] op_sel:[0,1] op_sel_hi:[1,0]
	s_nop 0
	v_pk_add_f32 v[62:63], v[62:63], v[72:73] op_sel:[1,0] op_sel_hi:[0,1]
	v_mov_b32_e32 v7, v62
	v_pk_add_f32 v[74:75], v[6:7], v[76:77] neg_lo:[0,1] neg_hi:[0,1]
	v_mov_b32_e32 v5, v72
	v_sub_f32_e32 v6, v6, v74
	v_pk_add_f32 v[4:5], v[4:5], v[74:75] neg_lo:[0,1] neg_hi:[0,1]
	v_sub_f32_e32 v6, v76, v6
	v_add_f32_e32 v4, v4, v6
	v_add_f32_e32 v4, v4, v5
	;; [unrolled: 1-line block ×3, first 2 shown]
	v_sub_f32_e32 v6, v5, v62
	v_sub_f32_e32 v4, v4, v6
	v_mul_f32_e32 v6, v89, v5
	v_fma_f32 v5, v89, v5, -v6
	v_fmac_f32_e32 v5, v89, v4
	v_add_f32_e32 v4, v6, v5
	v_cmp_class_f32_e64 vcc, v6, s2
	v_sub_f32_e32 v7, v4, v6
	v_sub_f32_e32 v5, v5, v7
	v_cndmask_b32_e32 v4, v4, v6, vcc
	v_cmp_neq_f32_e64 vcc, |v4|, s99
	s_nop 1
	v_cndmask_b32_e32 v5, 0, v5, vcc
	v_cmp_eq_f32_e32 vcc, s98, v4
	s_nop 1
	v_cndmask_b32_e32 v6, 0, v42, vcc
	v_sub_f32_e32 v4, v4, v6
	v_add_f32_e32 v5, v6, v5
	v_mul_f32_e32 v6, 0x3fb8aa3b, v4
	v_fma_f32 v7, v4, s62, -v6
	v_rndne_f32_e32 v62, v6
	v_fmac_f32_e32 v7, 0x32a5705f, v4
	v_sub_f32_e32 v6, v6, v62
	v_add_f32_e32 v6, v6, v7
	v_exp_f32_e32 v6, v6
	v_cvt_i32_f32_e32 v7, v62
	v_cmp_ngt_f32_e32 vcc, s63, v4
	v_ldexp_f32 v6, v6, v7
	s_nop 0
	v_cndmask_b32_e32 v6, 0, v6, vcc
	v_cmp_nlt_f32_e32 vcc, s98, v4
	s_nop 1
	v_cndmask_b32_e32 v4, v69, v6, vcc
	v_fma_f32 v5, v4, v5, v4
	v_cmp_class_f32_e64 vcc, v4, s2
	s_nop 1
	v_cndmask_b32_e32 v4, v5, v4, vcc
	v_trunc_f32_e32 v5, v89
	v_cmp_eq_f32_e32 vcc, v5, v89
	v_mul_f32_e32 v5, 0.5, v89
	v_trunc_f32_e32 v6, v5
	v_cmp_neq_f32_e64 s[70:71], v6, v5
	s_and_b64 s[70:71], vcc, s[70:71]
	s_nop 0
	v_cndmask_b32_e64 v5, 1.0, v90, s[70:71]
	v_bfi_b32 v4, s3, v4, v5
	v_cndmask_b32_e32 v5, v43, v4, vcc
	v_cmp_eq_f32_e32 vcc, 0, v90
	v_cndmask_b32_e64 v4, v4, v5, s[80:81]
	s_or_b64 s[80:81], vcc, s[28:29]
	s_xor_b64 s[28:29], s[82:83], vcc
	v_cndmask_b32_e64 v5, v69, 0, s[28:29]
	v_cndmask_b32_e64 v6, 0, v90, s[70:71]
	v_bfi_b32 v5, s3, v5, v6
	v_mad_u64_u32 v[6:7], s[28:29], s58, 28, v[0:1]
	v_cndmask_b32_e64 v4, v4, v5, s[80:81]
	scratch_load_dword v5, v6, off
	v_cmp_o_f32_e32 vcc, v90, v90
	s_add_i32 s28, s58, 1
	v_add_u32_e32 v1, -1, v1
	v_cndmask_b32_e32 v4, v43, v4, vcc
	v_mul_f32_e32 v4, v4, v88
	v_cmp_eq_u32_e32 vcc, s58, v25
	s_or_b64 s[24:25], vcc, s[24:25]
	s_mov_b32 s58, s28
	s_waitcnt vmcnt(0)
	v_fmac_f32_e32 v60, v5, v4
	s_andn2_b64 exec, exec, s[24:25]
	s_cbranch_execz .LBB0_358
.LBB0_332:                              ;   Parent Loop BB0_225 Depth=1
                                        ;     Parent Loop BB0_325 Depth=2
                                        ; =>    This Loop Header: Depth=3
                                        ;         Child Loop BB0_335 Depth 4
                                        ;         Child Loop BB0_339 Depth 4
	;; [unrolled: 1-line block ×6, first 2 shown]
	v_mov_b32_e32 v62, 1
	s_and_saveexec_b64 s[70:71], s[42:43]
	s_cbranch_execz .LBB0_342
; %bb.333:                              ;   in Loop: Header=BB0_332 Depth=3
	s_mov_b64 vcc, -1
	v_mov_b32_e32 v4, 2
	v_mov_b32_e32 v62, 1
	s_and_saveexec_b64 s[80:81], s[38:39]
	s_cbranch_execz .LBB0_337
; %bb.334:                              ;   in Loop: Header=BB0_332 Depth=3
	s_mov_b32 s82, 1
	s_mov_b32 s59, 3
	;; [unrolled: 1-line block ×3, first 2 shown]
	s_mov_b64 s[96:97], 0
	v_mov_b32_e32 v62, v99
	s_mov_b32 s83, s82
	s_mov_b32 s28, s82
	;; [unrolled: 1-line block ×3, first 2 shown]
.LBB0_335:                              ;   Parent Loop BB0_225 Depth=1
                                        ;     Parent Loop BB0_325 Depth=2
                                        ;       Parent Loop BB0_332 Depth=3
                                        ; =>      This Inner Loop Header: Depth=4
	s_add_i32 s61, s60, 2
	s_add_i32 vcc_lo, s59, 2
	v_add_u32_e32 v62, -4, v62
	s_mul_i32 s83, s83, s59
	s_mul_i32 s82, s82, s60
	s_add_i32 s60, s60, 4
	s_add_i32 s59, s59, 4
	s_mul_i32 s29, s29, vcc_lo
	s_mul_i32 s28, s28, s61
	v_cmp_eq_u32_e32 vcc, 0, v62
	v_mov_b64_e32 v[4:5], s[82:83]
	s_or_b64 s[96:97], vcc, s[96:97]
	v_mov_b64_e32 v[6:7], s[28:29]
	s_andn2_b64 exec, exec, s[96:97]
	s_cbranch_execnz .LBB0_335
; %bb.336:                              ;   in Loop: Header=BB0_332 Depth=3
	s_or_b64 exec, exec, s[96:97]
	v_mul_lo_u32 v5, v7, v5
	v_mul_lo_u32 v4, v6, v4
	;; [unrolled: 1-line block ×3, first 2 shown]
	s_orn2_b64 vcc, s[48:49], exec
	v_mov_b32_e32 v4, v100
.LBB0_337:                              ;   in Loop: Header=BB0_332 Depth=3
	s_or_b64 exec, exec, s[80:81]
	s_and_saveexec_b64 s[28:29], vcc
	s_cbranch_execz .LBB0_341
; %bb.338:                              ;   in Loop: Header=BB0_332 Depth=3
	s_mov_b64 s[80:81], 0
.LBB0_339:                              ;   Parent Loop BB0_225 Depth=1
                                        ;     Parent Loop BB0_325 Depth=2
                                        ;       Parent Loop BB0_332 Depth=3
                                        ; =>      This Inner Loop Header: Depth=4
	v_mul_lo_u32 v62, v62, v4
	v_add_u32_e32 v4, 1, v4
	v_cmp_eq_u32_e32 vcc, v117, v4
	s_or_b64 s[80:81], vcc, s[80:81]
	s_andn2_b64 exec, exec, s[80:81]
	s_cbranch_execnz .LBB0_339
; %bb.340:                              ;   in Loop: Header=BB0_332 Depth=3
	s_or_b64 exec, exec, s[80:81]
.LBB0_341:                              ;   in Loop: Header=BB0_332 Depth=3
	s_or_b64 exec, exec, s[28:29]
.LBB0_342:                              ;   in Loop: Header=BB0_332 Depth=3
	s_or_b64 exec, exec, s[70:71]
	s_cmp_lt_u32 s58, 2
	s_mov_b32 s59, 1
	s_cbranch_scc1 .LBB0_350
; %bb.343:                              ;   in Loop: Header=BB0_332 Depth=3
	s_cmp_lt_u32 s58, 5
	s_cbranch_scc1 .LBB0_347
; %bb.344:                              ;   in Loop: Header=BB0_332 Depth=3
	s_and_b32 s29, s23, -4
	s_mov_b32 s28, 1
	s_mov_b32 s59, 3
	;; [unrolled: 1-line block ×4, first 2 shown]
	s_mov_b32 vcc_lo, 1
	s_mov_b32 vcc_hi, 1
.LBB0_345:                              ;   Parent Loop BB0_225 Depth=1
                                        ;     Parent Loop BB0_325 Depth=2
                                        ;       Parent Loop BB0_332 Depth=3
                                        ; =>      This Inner Loop Header: Depth=4
	s_add_i32 s70, s60, 2
	s_add_i32 s71, s59, 2
	s_mul_i32 s61, s61, s59
	s_mul_i32 s28, s28, s60
	s_add_i32 s60, s60, 4
	s_add_i32 s59, s59, 4
	s_add_i32 s29, s29, -4
	s_mul_i32 vcc_hi, vcc_hi, s71
	s_cmp_lg_u32 s29, 0
	s_mul_i32 vcc_lo, vcc_lo, s70
	s_cbranch_scc1 .LBB0_345
; %bb.346:                              ;   in Loop: Header=BB0_332 Depth=3
	s_add_i32 s29, s58, -1
	s_and_b32 s70, s29, -4
	s_or_b32 s60, s70, 2
	s_mul_i32 s59, vcc_hi, s61
	s_mul_i32 s28, vcc_lo, s28
	s_cmp_lg_u32 s29, s70
	s_mul_i32 s59, s28, s59
	s_cselect_b64 s[28:29], -1, 0
	s_and_b64 vcc, exec, s[28:29]
	s_cbranch_vccnz .LBB0_348
	s_branch .LBB0_350
.LBB0_347:                              ;   in Loop: Header=BB0_332 Depth=3
	s_mov_b32 s60, 2
	s_cbranch_execz .LBB0_350
.LBB0_348:                              ;   in Loop: Header=BB0_332 Depth=3
	s_add_i32 s28, s58, 1
.LBB0_349:                              ;   Parent Loop BB0_225 Depth=1
                                        ;     Parent Loop BB0_325 Depth=2
                                        ;       Parent Loop BB0_332 Depth=3
                                        ; =>      This Inner Loop Header: Depth=4
	s_mul_i32 s59, s59, s60
	s_add_i32 s60, s60, 1
	s_cmp_lg_u32 s28, s60
	s_cbranch_scc1 .LBB0_349
.LBB0_350:                              ;   in Loop: Header=BB0_332 Depth=3
	v_subrev_u32_e32 v63, s58, v25
	v_mov_b32_e32 v4, 1
	v_cmp_lt_i32_e32 vcc, 1, v63
	s_and_saveexec_b64 s[70:71], vcc
	s_cbranch_execz .LBB0_331
; %bb.351:                              ;   in Loop: Header=BB0_332 Depth=3
	v_subrev_u32_e32 v72, s58, v84
	v_cmp_lt_u32_e32 vcc, 3, v72
	s_mov_b64 s[82:83], -1
	v_mov_b32_e32 v73, 2
	v_mov_b32_e32 v4, 1
	s_and_saveexec_b64 s[80:81], vcc
	s_cbranch_execz .LBB0_355
; %bb.352:                              ;   in Loop: Header=BB0_332 Depth=3
	s_mov_b32 s82, 1
	v_and_b32_e32 v73, -4, v61
	s_mov_b32 s60, 3
	s_mov_b32 s61, 2
	s_mov_b64 s[96:97], 0
	s_mov_b32 s83, s82
	s_mov_b32 s28, s82
	;; [unrolled: 1-line block ×3, first 2 shown]
.LBB0_353:                              ;   Parent Loop BB0_225 Depth=1
                                        ;     Parent Loop BB0_325 Depth=2
                                        ;       Parent Loop BB0_332 Depth=3
                                        ; =>      This Inner Loop Header: Depth=4
	s_add_i32 vcc_lo, s61, 2
	s_add_i32 vcc_hi, s60, 2
	v_add_u32_e32 v73, -4, v73
	s_mul_i32 s83, s83, s60
	s_mul_i32 s82, s82, s61
	s_add_i32 s61, s61, 4
	s_add_i32 s60, s60, 4
	s_mul_i32 s29, s29, vcc_hi
	s_mul_i32 s28, s28, vcc_lo
	v_cmp_eq_u32_e32 vcc, 0, v73
	v_mov_b64_e32 v[4:5], s[82:83]
	s_or_b64 s[96:97], vcc, s[96:97]
	v_mov_b64_e32 v[6:7], s[28:29]
	s_andn2_b64 exec, exec, s[96:97]
	s_cbranch_execnz .LBB0_353
; %bb.354:                              ;   in Loop: Header=BB0_332 Depth=3
	s_or_b64 exec, exec, s[96:97]
	v_and_b32_e32 v74, -4, v72
	v_mul_lo_u32 v5, v7, v5
	v_mul_lo_u32 v4, v6, v4
	v_cmp_ne_u32_e32 vcc, v72, v74
	v_or_b32_e32 v73, 2, v74
	v_mul_lo_u32 v4, v4, v5
	s_orn2_b64 s[82:83], vcc, exec
.LBB0_355:                              ;   in Loop: Header=BB0_332 Depth=3
	s_or_b64 exec, exec, s[80:81]
	s_and_saveexec_b64 s[28:29], s[82:83]
	s_cbranch_execz .LBB0_330
; %bb.356:                              ;   in Loop: Header=BB0_332 Depth=3
	s_mov_b64 s[80:81], 0
.LBB0_357:                              ;   Parent Loop BB0_225 Depth=1
                                        ;     Parent Loop BB0_325 Depth=2
                                        ;       Parent Loop BB0_332 Depth=3
                                        ; =>      This Inner Loop Header: Depth=4
	v_mul_lo_u32 v4, v4, v73
	v_add_u32_e32 v73, 1, v73
	v_cmp_eq_u32_e32 vcc, v1, v73
	s_or_b64 s[80:81], vcc, s[80:81]
	s_andn2_b64 exec, exec, s[80:81]
	s_cbranch_execnz .LBB0_357
	s_branch .LBB0_329
.LBB0_358:                              ;   in Loop: Header=BB0_325 Depth=2
	s_or_b64 exec, exec, s[24:25]
	s_or_b64 exec, exec, s[8:9]
	v_mov_b32_e32 v6, 1
	s_and_saveexec_b64 s[8:9], s[46:47]
	s_cbranch_execz .LBB0_327
.LBB0_359:                              ;   in Loop: Header=BB0_325 Depth=2
	s_mov_b64 s[28:29], -1
	v_mov_b32_e32 v0, 2
	v_mov_b32_e32 v6, 1
	s_and_saveexec_b64 s[24:25], s[50:51]
	s_cbranch_execz .LBB0_363
; %bb.360:                              ;   in Loop: Header=BB0_325 Depth=2
	s_mov_b32 s70, 1
	s_mov_b32 s23, 3
	;; [unrolled: 1-line block ×3, first 2 shown]
	s_mov_b64 s[80:81], 0
	v_mov_b32_e32 v6, v101
	s_mov_b32 s71, s70
	s_mov_b32 s28, s70
	;; [unrolled: 1-line block ×3, first 2 shown]
.LBB0_361:                              ;   Parent Loop BB0_225 Depth=1
                                        ;     Parent Loop BB0_325 Depth=2
                                        ; =>    This Inner Loop Header: Depth=3
	s_add_i32 s59, s58, 2
	s_add_i32 s60, s23, 2
	v_add_u32_e32 v6, -4, v6
	s_mul_i32 s71, s71, s23
	s_mul_i32 s70, s70, s58
	s_add_i32 s58, s58, 4
	s_add_i32 s23, s23, 4
	s_mul_i32 s29, s29, s60
	s_mul_i32 s28, s28, s59
	v_cmp_eq_u32_e32 vcc, 0, v6
	v_mov_b64_e32 v[0:1], s[70:71]
	s_or_b64 s[80:81], vcc, s[80:81]
	v_mov_b64_e32 v[4:5], s[28:29]
	s_andn2_b64 exec, exec, s[80:81]
	s_cbranch_execnz .LBB0_361
; %bb.362:                              ;   in Loop: Header=BB0_325 Depth=2
	s_or_b64 exec, exec, s[80:81]
	v_mul_lo_u32 v1, v5, v1
	v_mul_lo_u32 v0, v4, v0
	;; [unrolled: 1-line block ×3, first 2 shown]
	s_orn2_b64 s[28:29], s[52:53], exec
	v_mov_b32_e32 v0, v102
.LBB0_363:                              ;   in Loop: Header=BB0_325 Depth=2
	s_or_b64 exec, exec, s[24:25]
	s_and_saveexec_b64 s[24:25], s[28:29]
	s_cbranch_execz .LBB0_367
; %bb.364:                              ;   in Loop: Header=BB0_325 Depth=2
	s_mov_b64 s[28:29], 0
.LBB0_365:                              ;   Parent Loop BB0_225 Depth=1
                                        ;     Parent Loop BB0_325 Depth=2
                                        ; =>    This Inner Loop Header: Depth=3
	v_mul_lo_u32 v6, v6, v0
	v_add_u32_e32 v0, 1, v0
	v_cmp_eq_u32_e32 vcc, v118, v0
	s_or_b64 s[28:29], vcc, s[28:29]
	s_andn2_b64 exec, exec, s[28:29]
	s_cbranch_execnz .LBB0_365
; %bb.366:                              ;   in Loop: Header=BB0_325 Depth=2
	s_or_b64 exec, exec, s[28:29]
.LBB0_367:                              ;   in Loop: Header=BB0_325 Depth=2
	s_or_b64 exec, exec, s[24:25]
	s_or_b64 exec, exec, s[8:9]
	s_cmp_lt_u32 s22, 2
	s_mov_b32 s23, 1
	s_cbranch_scc1 .LBB0_375
.LBB0_368:                              ;   in Loop: Header=BB0_325 Depth=2
	s_cmp_lt_u32 s22, 5
	s_cbranch_scc1 .LBB0_372
; %bb.369:                              ;   in Loop: Header=BB0_325 Depth=2
	s_and_b32 s9, s21, -4
	s_mov_b32 s8, 1
	s_mov_b32 s23, 3
	;; [unrolled: 1-line block ×6, first 2 shown]
.LBB0_370:                              ;   Parent Loop BB0_225 Depth=1
                                        ;     Parent Loop BB0_325 Depth=2
                                        ; =>    This Inner Loop Header: Depth=3
	s_add_i32 s58, s24, 2
	s_add_i32 s59, s23, 2
	s_mul_i32 s25, s25, s23
	s_mul_i32 s8, s8, s24
	s_add_i32 s24, s24, 4
	s_add_i32 s23, s23, 4
	s_add_i32 s9, s9, -4
	s_mul_i32 s29, s29, s59
	s_cmp_lg_u32 s9, 0
	s_mul_i32 s28, s28, s58
	s_cbranch_scc1 .LBB0_370
; %bb.371:                              ;   in Loop: Header=BB0_325 Depth=2
	s_add_i32 s9, s22, -1
	s_and_b32 s58, s9, -4
	s_or_b32 s24, s58, 2
	s_mul_i32 s23, s29, s25
	s_mul_i32 s8, s28, s8
	s_cmp_lg_u32 s9, s58
	s_mul_i32 s23, s8, s23
	s_cselect_b64 s[8:9], -1, 0
	s_and_b64 vcc, exec, s[8:9]
	s_cbranch_vccnz .LBB0_373
	s_branch .LBB0_375
.LBB0_372:                              ;   in Loop: Header=BB0_325 Depth=2
	s_mov_b32 s24, 2
	s_cbranch_execz .LBB0_375
.LBB0_373:                              ;   in Loop: Header=BB0_325 Depth=2
	s_add_i32 s8, s22, 1
.LBB0_374:                              ;   Parent Loop BB0_225 Depth=1
                                        ;     Parent Loop BB0_325 Depth=2
                                        ; =>    This Inner Loop Header: Depth=3
	s_mul_i32 s23, s23, s24
	s_add_i32 s24, s24, 1
	s_cmp_lg_u32 s8, s24
	s_cbranch_scc1 .LBB0_374
.LBB0_375:                              ;   in Loop: Header=BB0_325 Depth=2
	v_subrev_u32_e32 v7, s22, v28
	v_mov_b32_e32 v0, 1
	v_cmp_lt_i32_e32 vcc, 1, v7
	s_and_saveexec_b64 s[8:9], vcc
	s_cbranch_execz .LBB0_324
; %bb.376:                              ;   in Loop: Header=BB0_325 Depth=2
	v_subrev_u32_e32 v61, s22, v65
	v_cmp_lt_u32_e32 vcc, 3, v61
	s_mov_b64 s[28:29], -1
	v_mov_b32_e32 v62, 2
	v_mov_b32_e32 v0, 1
	s_and_saveexec_b64 s[24:25], vcc
	s_cbranch_execz .LBB0_380
; %bb.377:                              ;   in Loop: Header=BB0_325 Depth=2
	s_mov_b32 s70, 1
	v_and_b32_e32 v62, -4, v59
	s_mov_b32 s58, 3
	s_mov_b32 s59, 2
	s_mov_b64 s[80:81], 0
	s_mov_b32 s71, s70
	s_mov_b32 s28, s70
	;; [unrolled: 1-line block ×3, first 2 shown]
.LBB0_378:                              ;   Parent Loop BB0_225 Depth=1
                                        ;     Parent Loop BB0_325 Depth=2
                                        ; =>    This Inner Loop Header: Depth=3
	s_add_i32 s60, s59, 2
	s_add_i32 s61, s58, 2
	v_add_u32_e32 v62, -4, v62
	s_mul_i32 s71, s71, s58
	s_mul_i32 s70, s70, s59
	s_add_i32 s59, s59, 4
	s_add_i32 s58, s58, 4
	s_mul_i32 s29, s29, s61
	s_mul_i32 s28, s28, s60
	v_cmp_eq_u32_e32 vcc, 0, v62
	v_mov_b64_e32 v[0:1], s[70:71]
	s_or_b64 s[80:81], vcc, s[80:81]
	v_mov_b64_e32 v[4:5], s[28:29]
	s_andn2_b64 exec, exec, s[80:81]
	s_cbranch_execnz .LBB0_378
; %bb.379:                              ;   in Loop: Header=BB0_325 Depth=2
	s_or_b64 exec, exec, s[80:81]
	v_and_b32_e32 v63, -4, v61
	v_mul_lo_u32 v1, v5, v1
	v_mul_lo_u32 v0, v4, v0
	v_cmp_ne_u32_e32 vcc, v61, v63
	v_or_b32_e32 v62, 2, v63
	v_mul_lo_u32 v0, v0, v1
	s_orn2_b64 s[28:29], vcc, exec
.LBB0_380:                              ;   in Loop: Header=BB0_325 Depth=2
	s_or_b64 exec, exec, s[24:25]
	s_and_saveexec_b64 s[24:25], s[28:29]
	s_cbranch_execz .LBB0_323
; %bb.381:                              ;   in Loop: Header=BB0_325 Depth=2
	s_mov_b64 s[28:29], 0
.LBB0_382:                              ;   Parent Loop BB0_225 Depth=1
                                        ;     Parent Loop BB0_325 Depth=2
                                        ; =>    This Inner Loop Header: Depth=3
	v_mul_lo_u32 v0, v0, v62
	v_add_u32_e32 v62, 1, v62
	v_cmp_eq_u32_e32 vcc, v58, v62
	s_or_b64 s[28:29], vcc, s[28:29]
	s_andn2_b64 exec, exec, s[28:29]
	s_cbranch_execnz .LBB0_382
; %bb.383:                              ;   in Loop: Header=BB0_325 Depth=2
	s_or_b64 exec, exec, s[28:29]
	s_branch .LBB0_323
.LBB0_384:                              ;   in Loop: Header=BB0_225 Depth=1
	s_or_b64 exec, exec, s[86:87]
.LBB0_385:                              ;   in Loop: Header=BB0_225 Depth=1
	s_or_b64 exec, exec, s[4:5]
	v_mul_f32_e32 v0, v83, v56
	v_mul_f32_e32 v4, v36, v45
	v_cvt_f64_f32_e32 v[0:1], v0
	v_cvt_f64_f32_e32 v[4:5], v4
	v_fmac_f64_e32 v[0:1], 2.0, v[4:5]
	v_cvt_f32_f64_e32 v0, v[0:1]
	scratch_store_dword off, v35, s32 offset:176
	s_mov_b64 s[4:5], exec
	v_readlane_b32 s8, v92, 24
	v_readlane_b32 s9, v92, 25
	s_and_b64 s[8:9], s[4:5], s[8:9]
	s_mov_b64 exec, s[8:9]
	s_cbranch_execz .LBB0_387
; %bb.386:                              ;   in Loop: Header=BB0_225 Depth=1
	v_mul_f32_e32 v1, v35, v0
	scratch_store_dword off, v1, s32 offset:204
.LBB0_387:                              ;   in Loop: Header=BB0_225 Depth=1
	s_or_b64 exec, exec, s[4:5]
	v_mul_f32_e32 v1, v70, v56
	v_cvt_f64_f32_e32 v[4:5], v1
	v_mul_f32_e32 v1, v38, v45
	v_cvt_f64_f32_e32 v[6:7], v1
	v_fmac_f64_e32 v[4:5], 2.0, v[6:7]
	v_cvt_f32_f64_e32 v4, v[4:5]
	s_mov_b64 s[4:5], exec
	v_readlane_b32 s8, v92, 26
	v_readlane_b32 s9, v92, 27
	s_and_b64 s[8:9], s[4:5], s[8:9]
	s_mov_b64 exec, s[8:9]
	s_cbranch_execz .LBB0_389
; %bb.388:                              ;   in Loop: Header=BB0_225 Depth=1
	v_mul_f32_e32 v1, v35, v4
	scratch_store_dword off, v1, s32 offset:180
.LBB0_389:                              ;   in Loop: Header=BB0_225 Depth=1
	s_or_b64 exec, exec, s[4:5]
	s_mov_b64 s[4:5], exec
	v_readlane_b32 s8, v92, 22
	v_readlane_b32 s9, v92, 23
	s_and_b64 s[8:9], s[4:5], s[8:9]
	s_mov_b64 exec, s[8:9]
	s_cbranch_execz .LBB0_392
; %bb.390:                              ;   in Loop: Header=BB0_225 Depth=1
	scratch_load_dword v1, off, s32 offset:204
	s_add_i32 s8, s32, 0xb0
	s_mov_b32 s21, s8
	s_mov_b32 s22, 1
	s_mov_b64 s[8:9], 0
.LBB0_391:                              ;   Parent Loop BB0_225 Depth=1
                                        ; =>  This Inner Loop Header: Depth=2
	scratch_load_dword v6, off, s21
	v_cvt_f32_i32_e32 v5, s22
	s_add_i32 s22, s22, 1
	s_add_i32 s23, s21, 56
	;; [unrolled: 1-line block ×3, first 2 shown]
	v_mul_f32_e32 v5, v47, v5
	v_cmp_eq_u32_e32 vcc, s22, v50
	s_or_b64 s[8:9], vcc, s[8:9]
	s_waitcnt vmcnt(0)
	v_mul_f32_e32 v5, v6, v5
	v_fmac_f32_e32 v5, v1, v0
	v_mov_b32_e32 v1, v5
	scratch_store_dword off, v5, s23
	s_andn2_b64 exec, exec, s[8:9]
	s_cbranch_execnz .LBB0_391
.LBB0_392:                              ;   in Loop: Header=BB0_225 Depth=1
	s_or_b64 exec, exec, s[4:5]
	s_and_saveexec_b64 s[4:5], s[72:73]
	s_cbranch_execz .LBB0_395
; %bb.393:                              ;   in Loop: Header=BB0_225 Depth=1
	scratch_load_dword v0, off, s32 offset:180
	s_add_i32 s8, s32, 0xb0
	s_mov_b32 s21, s8
	s_mov_b32 s22, 1
	s_mov_b64 s[8:9], 0
.LBB0_394:                              ;   Parent Loop BB0_225 Depth=1
                                        ; =>  This Inner Loop Header: Depth=2
	scratch_load_dword v5, off, s21
	v_cvt_f32_i32_e32 v1, s22
	s_add_i32 s22, s22, 1
	s_add_i32 s23, s21, 8
	;; [unrolled: 1-line block ×3, first 2 shown]
	v_mul_f32_e32 v1, v46, v1
	v_cmp_eq_u32_e32 vcc, s22, v68
	s_or_b64 s[8:9], vcc, s[8:9]
	s_waitcnt vmcnt(0)
	v_mul_f32_e32 v1, v5, v1
	v_fmac_f32_e32 v1, v0, v4
	v_mov_b32_e32 v0, v1
	scratch_store_dword off, v1, s23
	s_andn2_b64 exec, exec, s[8:9]
	s_cbranch_execnz .LBB0_394
.LBB0_395:                              ;   in Loop: Header=BB0_225 Depth=1
	s_or_b64 exec, exec, s[4:5]
	s_mov_b64 s[4:5], exec
	v_readlane_b32 s8, v92, 28
	v_readlane_b32 s9, v92, 29
	s_and_b64 s[8:9], s[4:5], s[8:9]
	s_mov_b64 exec, s[8:9]
	s_cbranch_execz .LBB0_401
; %bb.396:                              ;   in Loop: Header=BB0_225 Depth=1
	s_mov_b32 s22, 1
	s_mov_b64 s[8:9], 0
	s_mov_b32 s21, s75
	s_branch .LBB0_398
.LBB0_397:                              ;   in Loop: Header=BB0_398 Depth=2
	s_or_b64 exec, exec, s[24:25]
	s_add_i32 s23, s22, 1
	s_add_i32 s21, s21, 28
	v_cmp_eq_u32_e32 vcc, s22, v50
	s_or_b64 s[8:9], vcc, s[8:9]
	s_mov_b32 s22, s23
	s_andn2_b64 exec, exec, s[8:9]
	s_cbranch_execz .LBB0_401
.LBB0_398:                              ;   Parent Loop BB0_225 Depth=1
                                        ; =>  This Loop Header: Depth=2
                                        ;       Child Loop BB0_400 Depth 3
	s_mul_i32 s23, s22, 28
	s_add_i32 s24, s32, s23
	s_add_i32 s23, s24, 0xb0
	s_add_i32 s24, s23, 0xffffffe4
	scratch_load_dword v1, off, s23
	scratch_load_dword v6, off, s24
	v_cvt_f32_u32_e32 v0, s22
	v_mul_f32_e32 v0, v45, v0
	s_waitcnt vmcnt(1)
	v_mul_f32_e32 v5, v1, v4
	s_waitcnt vmcnt(0)
	v_fmac_f32_e32 v5, v6, v0
	scratch_store_dword off, v5, s23 offset:4
	s_and_saveexec_b64 s[24:25], s[72:73]
	s_cbranch_execz .LBB0_397
; %bb.399:                              ;   in Loop: Header=BB0_398 Depth=2
	s_mov_b32 s23, 1
	s_mov_b64 s[70:71], 0
	s_mov_b32 s28, s21
.LBB0_400:                              ;   Parent Loop BB0_225 Depth=1
                                        ;     Parent Loop BB0_398 Depth=2
                                        ; =>    This Inner Loop Header: Depth=3
	s_add_i32 s29, s28, -8
	s_add_i32 s58, s28, 0xffffffe0
	scratch_load_dword v7, off, s29
	scratch_load_dword v6, off, s58
	v_cvt_f32_i32_e32 v1, s23
	s_add_i32 s23, s23, 1
	v_cmp_eq_u32_e32 vcc, s23, v68
	v_mul_f32_e32 v1, v46, v1
	s_waitcnt vmcnt(0)
	v_pk_mul_f32 v[6:7], v[0:1], v[6:7]
	s_nop 0
	v_add_f32_e32 v1, v6, v7
	v_fmac_f32_e32 v1, v5, v4
	scratch_store_dword off, v1, s28
	s_add_i32 s28, s28, 4
	s_or_b64 s[70:71], vcc, s[70:71]
	v_mov_b32_e32 v5, v1
	s_andn2_b64 exec, exec, s[70:71]
	s_cbranch_execnz .LBB0_400
	s_branch .LBB0_397
.LBB0_401:                              ;   in Loop: Header=BB0_225 Depth=1
	s_or_b64 exec, exec, s[4:5]
	v_mov_b32_e32 v45, 0
	s_mov_b64 s[4:5], exec
	v_readlane_b32 s8, v92, 30
	v_readlane_b32 s9, v92, 31
	s_and_b64 s[8:9], s[4:5], s[8:9]
	s_mov_b64 exec, s[8:9]
	s_cbranch_execz .LBB0_224
; %bb.402:                              ;   in Loop: Header=BB0_225 Depth=1
	v_mov_b32_e32 v45, 0
	s_mov_b32 s22, 0
	s_mov_b32 s21, -1
	s_mov_b64 s[86:87], 0
	v_mov_b32_e32 v46, v40
	v_mov_b32_e32 v47, v34
	s_branch .LBB0_405
.LBB0_403:                              ;   in Loop: Header=BB0_405 Depth=2
	s_or_b64 exec, exec, s[24:25]
.LBB0_404:                              ;   in Loop: Header=BB0_405 Depth=2
	s_or_b64 exec, exec, s[8:9]
	v_mul_lo_u32 v0, v0, s23
	v_sub_u32_e32 v1, 0, v0
	v_max_i32_e32 v1, v0, v1
	v_cvt_f32_u32_e32 v4, v1
	v_sub_u32_e32 v5, 0, v6
	v_xor_b32_e32 v0, v6, v0
	v_max_i32_e32 v5, v6, v5
	v_rcp_iflag_f32_e32 v4, v4
	v_sub_u32_e32 v6, 0, v1
	v_ashrrev_i32_e32 v0, 31, v0
	s_add_i32 s21, s21, 1
	v_mul_f32_e32 v4, 0x4f7ffffe, v4
	v_cvt_u32_f32_e32 v4, v4
	v_add_u32_e32 v47, -1, v47
	v_add_u32_e32 v46, -1, v46
	v_mul_lo_u32 v6, v6, v4
	v_mul_hi_u32 v6, v4, v6
	v_add_u32_e32 v4, v4, v6
	v_mul_hi_u32 v4, v5, v4
	v_mul_lo_u32 v6, v4, v1
	v_sub_u32_e32 v5, v5, v6
	v_add_u32_e32 v58, 1, v4
	v_cmp_ge_u32_e32 vcc, v5, v1
	v_sub_u32_e32 v6, v5, v1
	s_nop 0
	v_cndmask_b32_e32 v4, v4, v58, vcc
	v_cndmask_b32_e32 v5, v5, v6, vcc
	v_add_u32_e32 v6, 1, v4
	v_cmp_ge_u32_e32 vcc, v5, v1
	s_nop 1
	v_cndmask_b32_e32 v1, v4, v6, vcc
	v_cvt_f32_i32_e32 v4, v7
	v_xor_b32_e32 v1, v1, v0
	v_sub_u32_e32 v0, v1, v0
	v_cvt_f32_i32_e32 v74, v0
	v_cndmask_b32_e64 v75, v4, 1.0, s[92:93]
	v_cmp_neq_f32_e32 vcc, 0, v75
	v_cmp_gt_f32_e64 s[80:81], 0, v75
	s_nop 0
	v_cndmask_b32_e32 v76, 1.0, v49, vcc
	v_frexp_mant_f32_e64 v0, |v76|
	v_cmp_gt_f32_e32 vcc, s0, v0
	v_cmp_class_f32_e64 s[8:9], v76, s2
	s_nop 0
	v_cndmask_b32_e64 v1, 1.0, 2.0, vcc
	v_mul_f32_e32 v0, v0, v1
	v_add_f32_e32 v5, 1.0, v0
	v_rcp_f32_e32 v60, v5
	v_add_f32_e32 v1, -1.0, v5
	v_sub_f32_e32 v7, v0, v1
	v_add_f32_e32 v1, -1.0, v0
	v_mul_f32_e32 v61, v1, v60
	v_mul_f32_e32 v4, v5, v61
	v_fma_f32 v6, v61, v5, -v4
	v_fmac_f32_e32 v6, v61, v7
	v_add_f32_e32 v0, v4, v6
	v_sub_f32_e32 v5, v1, v0
	v_pk_add_f32 v[58:59], v[0:1], v[4:5] neg_lo:[0,1] neg_hi:[0,1]
	v_mov_b32_e32 v7, v0
	v_pk_add_f32 v[0:1], v[58:59], v[6:7] neg_lo:[0,1] neg_hi:[0,1]
	s_nop 0
	v_add_f32_e32 v0, v0, v1
	v_add_f32_e32 v0, v5, v0
	v_mul_f32_e32 v1, v60, v0
	v_add_f32_e32 v0, v61, v1
	v_sub_f32_e32 v4, v0, v61
	v_sub_f32_e32 v62, v1, v4
	v_mul_f32_e32 v1, v0, v0
	v_fma_f32 v5, v0, v0, -v1
	v_add_f32_e32 v4, v62, v62
	v_fmac_f32_e32 v5, v0, v4
	v_add_f32_e32 v4, v1, v5
	v_fmamk_f32 v6, v4, 0x3e76c4e1, v41
	v_fmaak_f32 v6, v4, v6, 0x3ecccdef
	v_sub_f32_e32 v1, v4, v1
	v_sub_f32_e32 v63, v5, v1
	v_mul_f32_e32 v1, v4, v6
	v_fma_f32 v5, v4, v6, -v1
	v_fmac_f32_e32 v5, v63, v6
	v_add_f32_e32 v6, v1, v5
	v_add_f32_e32 v7, 0x3f2aaaaa, v6
	v_sub_f32_e32 v1, v6, v1
	v_sub_f32_e32 v1, v5, v1
	v_add_f32_e32 v5, 0xbf2aaaaa, v7
	v_add_f32_e32 v1, 0x31739010, v1
	v_sub_f32_e32 v5, v6, v5
	v_pk_mul_f32 v[58:59], v[0:1], v[4:5]
	v_pk_add_f32 v[60:61], v[0:1], v[4:5]
	v_fma_f32 v6, v4, v0, -v58
	v_fmac_f32_e32 v6, v4, v62
	v_mov_b32_e32 v59, v61
	v_fmac_f32_e32 v6, v63, v0
	v_pk_add_f32 v[4:5], v[58:59], v[6:7]
	v_ldexp_f32 v72, v62, 1
	v_sub_f32_e32 v1, v4, v58
	v_sub_f32_e32 v1, v6, v1
	v_sub_f32_e32 v6, v7, v5
	v_add_f32_e32 v60, v61, v6
	v_pk_mul_f32 v[6:7], v[4:5], v[4:5] op_sel:[0,1] op_sel_hi:[1,0]
	v_cvt_f64_f32_e64 v[58:59], |v76|
	v_frexp_exp_i32_f64_e32 v7, v[58:59]
	v_subbrev_co_u32_e32 v7, vcc, 0, v7, vcc
	v_cvt_f32_i32_e32 v7, v7
	v_fma_f32 v58, v4, v5, -v6
	v_fmac_f32_e32 v58, v4, v60
	v_fmac_f32_e32 v58, v1, v5
	v_mul_f32_e32 v4, 0x3f317218, v7
	v_fma_f32 v60, v7, s1, -v4
	v_fmac_f32_e32 v60, 0xb102e308, v7
	v_ldexp_f32 v61, v0, 1
	v_add_f32_e32 v5, v6, v58
	v_pk_add_f32 v[0:1], v[4:5], v[60:61]
	v_mov_b32_e32 v62, v5
	v_mov_b32_e32 v63, v1
	;; [unrolled: 1-line block ×3, first 2 shown]
	v_pk_add_f32 v[6:7], v[62:63], v[6:7] neg_lo:[0,1] neg_hi:[0,1]
	v_mov_b32_e32 v59, v5
	v_pk_add_f32 v[6:7], v[58:59], v[6:7] neg_lo:[0,1] neg_hi:[0,1]
	v_mov_b32_e32 v61, v0
	v_add_f32_e32 v5, v72, v6
	v_add_f32_e32 v5, v5, v7
	v_pk_add_f32 v[6:7], v[0:1], v[4:5] neg_lo:[0,1] neg_hi:[0,1]
	v_pk_add_f32 v[58:59], v[0:1], v[4:5]
	v_mov_b32_e32 v4, v5
	v_mov_b32_e32 v7, v59
	v_pk_add_f32 v[62:63], v[60:61], v[6:7] neg_lo:[0,1] neg_hi:[0,1]
	v_pk_add_f32 v[6:7], v[60:61], v[6:7]
	v_mov_b32_e32 v5, v0
	v_pk_add_f32 v[60:61], v[6:7], v[0:1] op_sel:[1,0] op_sel_hi:[0,1] neg_lo:[0,1] neg_hi:[0,1]
	v_pk_add_f32 v[72:73], v[58:59], v[60:61] op_sel_hi:[1,0] neg_lo:[0,1] neg_hi:[0,1]
	v_mov_b32_e32 v58, v59
	v_mov_b32_e32 v59, v7
	v_pk_mov_b32 v[60:61], v[0:1], v[60:61] op_sel:[1,0]
	v_mov_b32_e32 v72, v62
	v_pk_add_f32 v[58:59], v[58:59], v[60:61] neg_lo:[0,1] neg_hi:[0,1]
	v_mov_b32_e32 v63, v7
	v_pk_add_f32 v[0:1], v[4:5], v[58:59] neg_lo:[0,1] neg_hi:[0,1]
	s_nop 0
	v_pk_add_f32 v[4:5], v[72:73], v[0:1]
	s_nop 0
	v_pk_add_f32 v[58:59], v[4:5], v[4:5] op_sel:[0,1] op_sel_hi:[1,0]
	s_nop 0
	v_pk_add_f32 v[6:7], v[6:7], v[58:59] op_sel:[1,0] op_sel_hi:[0,1]
	v_mov_b32_e32 v5, v6
	v_pk_add_f32 v[60:61], v[4:5], v[62:63] neg_lo:[0,1] neg_hi:[0,1]
	v_mov_b32_e32 v1, v58
	v_sub_f32_e32 v4, v4, v60
	v_pk_add_f32 v[0:1], v[0:1], v[60:61] neg_lo:[0,1] neg_hi:[0,1]
	v_sub_f32_e32 v4, v62, v4
	v_add_f32_e32 v0, v0, v4
	v_add_f32_e32 v0, v0, v1
	;; [unrolled: 1-line block ×3, first 2 shown]
	v_sub_f32_e32 v4, v1, v6
	v_sub_f32_e32 v0, v0, v4
	v_mul_f32_e32 v4, v75, v1
	v_fma_f32 v1, v75, v1, -v4
	v_fmac_f32_e32 v1, v75, v0
	v_add_f32_e32 v0, v4, v1
	v_cmp_class_f32_e64 vcc, v4, s2
	v_sub_f32_e32 v5, v0, v4
	v_sub_f32_e32 v1, v1, v5
	v_cndmask_b32_e32 v0, v0, v4, vcc
	v_cmp_eq_f32_e32 vcc, s98, v0
	s_nop 1
	v_cndmask_b32_e32 v4, 0, v42, vcc
	v_sub_f32_e32 v5, v0, v4
	v_mul_f32_e32 v6, 0x3fb8aa3b, v5
	v_fma_f32 v7, v5, s62, -v6
	v_rndne_f32_e32 v58, v6
	v_fmac_f32_e32 v7, 0x32a5705f, v5
	v_sub_f32_e32 v6, v6, v58
	v_add_f32_e32 v6, v6, v7
	v_exp_f32_e32 v6, v6
	v_cvt_i32_f32_e32 v7, v58
	v_cmp_neq_f32_e64 vcc, |v0|, s99
	s_nop 1
	v_cndmask_b32_e32 v0, 0, v1, vcc
	v_ldexp_f32 v1, v6, v7
	v_cmp_ngt_f32_e32 vcc, s63, v5
	v_add_f32_e32 v0, v4, v0
	s_nop 0
	v_cndmask_b32_e32 v1, 0, v1, vcc
	v_cmp_nlt_f32_e32 vcc, s98, v5
	s_nop 1
	v_cndmask_b32_e32 v1, v69, v1, vcc
	v_fma_f32 v0, v1, v0, v1
	v_cmp_class_f32_e64 vcc, v1, s2
	s_nop 1
	v_cndmask_b32_e32 v0, v0, v1, vcc
	v_trunc_f32_e32 v1, v75
	v_cmp_eq_f32_e32 vcc, v1, v75
	v_mul_f32_e32 v1, 0.5, v75
	v_trunc_f32_e32 v4, v1
	v_cmp_neq_f32_e64 s[70:71], v4, v1
	s_and_b64 s[70:71], vcc, s[70:71]
	s_nop 0
	v_cndmask_b32_e64 v1, 1.0, v76, s[70:71]
	v_bfi_b32 v0, s3, v0, v1
	v_cndmask_b32_e32 v1, v43, v0, vcc
	v_cmp_gt_f32_e32 vcc, 0, v76
	v_cndmask_b32_e64 v4, 0, v76, s[70:71]
	s_nop 0
	v_cndmask_b32_e32 v0, v0, v1, vcc
	v_cmp_eq_f32_e32 vcc, 0, v76
	s_xor_b64 s[24:25], s[80:81], vcc
	v_cndmask_b32_e64 v1, v69, 0, s[24:25]
	v_bfi_b32 v1, s3, v1, v4
	s_or_b64 vcc, vcc, s[8:9]
	v_cndmask_b32_e32 v0, v0, v1, vcc
	v_cmp_o_f32_e32 vcc, v76, v76
	s_add_i32 s8, s22, 1
	s_nop 0
	v_cndmask_b32_e32 v0, v43, v0, vcc
	v_mul_f32_e32 v0, v0, v74
	v_cmp_eq_u32_e32 vcc, s22, v29
	v_fmac_f32_e32 v45, v56, v0
	s_or_b64 s[86:87], vcc, s[86:87]
	s_mov_b32 s22, s8
	s_andn2_b64 exec, exec, s[86:87]
	s_cbranch_execz .LBB0_223
.LBB0_405:                              ;   Parent Loop BB0_225 Depth=1
                                        ; =>  This Loop Header: Depth=2
                                        ;       Child Loop BB0_412 Depth 3
                                        ;         Child Loop BB0_415 Depth 4
                                        ;         Child Loop BB0_419 Depth 4
	;; [unrolled: 1-line block ×6, first 2 shown]
                                        ;       Child Loop BB0_441 Depth 3
                                        ;       Child Loop BB0_445 Depth 3
	;; [unrolled: 1-line block ×6, first 2 shown]
	v_mov_b32_e32 v56, 0
	s_and_saveexec_b64 s[8:9], s[76:77]
	s_cbranch_execnz .LBB0_408
; %bb.406:                              ;   in Loop: Header=BB0_405 Depth=2
	s_or_b64 exec, exec, s[8:9]
	v_mov_b32_e32 v6, 1
	s_and_saveexec_b64 s[8:9], s[90:91]
	s_cbranch_execnz .LBB0_439
.LBB0_407:                              ;   in Loop: Header=BB0_405 Depth=2
	s_or_b64 exec, exec, s[8:9]
	s_cmp_lt_u32 s22, 2
	s_mov_b32 s23, 1
	s_cbranch_scc0 .LBB0_448
	s_branch .LBB0_455
.LBB0_408:                              ;   in Loop: Header=BB0_405 Depth=2
	v_lshl_add_u32 v0, s22, 2, v33
	v_mov_b32_e32 v56, 0
	s_mov_b32 s58, 0
	s_mov_b32 s23, -1
	s_mov_b64 s[24:25], 0
	v_mov_b32_e32 v1, v119
	v_mov_b32_e32 v58, v37
	s_branch .LBB0_412
.LBB0_409:                              ;   in Loop: Header=BB0_412 Depth=3
	s_or_b64 exec, exec, s[80:81]
.LBB0_410:                              ;   in Loop: Header=BB0_412 Depth=3
	s_or_b64 exec, exec, s[28:29]
.LBB0_411:                              ;   in Loop: Header=BB0_412 Depth=3
	s_or_b64 exec, exec, s[70:71]
	v_mul_lo_u32 v4, v4, s59
	v_sub_u32_e32 v7, 0, v4
	v_xor_b32_e32 v5, v59, v4
	v_max_i32_e32 v4, v4, v7
	v_cvt_f32_u32_e32 v7, v4
	v_sub_u32_e32 v6, 0, v59
	v_max_i32_e32 v6, v59, v6
	v_sub_u32_e32 v59, 0, v4
	v_rcp_iflag_f32_e32 v7, v7
	v_ashrrev_i32_e32 v5, 31, v5
	s_add_i32 s23, s23, 1
	v_add_u32_e32 v58, -1, v58
	v_mul_f32_e32 v7, 0x4f7ffffe, v7
	v_cvt_u32_f32_e32 v7, v7
	v_mul_lo_u32 v59, v59, v7
	v_mul_hi_u32 v59, v7, v59
	v_add_u32_e32 v7, v7, v59
	v_mul_hi_u32 v7, v6, v7
	v_mul_lo_u32 v59, v7, v4
	v_sub_u32_e32 v6, v6, v59
	v_cmp_ge_u32_e32 vcc, v6, v4
	v_add_u32_e32 v59, 1, v7
	s_nop 0
	v_cndmask_b32_e32 v7, v7, v59, vcc
	v_sub_u32_e32 v59, v6, v4
	v_cndmask_b32_e32 v6, v6, v59, vcc
	v_cmp_ge_u32_e32 vcc, v6, v4
	v_add_u32_e32 v4, 1, v7
	s_nop 0
	v_cndmask_b32_e32 v4, v7, v4, vcc
	v_xor_b32_e32 v4, v4, v5
	v_sub_u32_e32 v4, v4, v5
	v_cvt_f32_i32_e32 v59, v4
	v_cvt_f32_i32_e32 v4, v60
	v_cndmask_b32_e64 v78, v4, 1.0, s[88:89]
	v_cmp_neq_f32_e32 vcc, 0, v78
	v_cmp_gt_f32_e64 s[82:83], 0, v78
	s_nop 0
	v_cndmask_b32_e32 v79, 1.0, v48, vcc
	v_frexp_mant_f32_e64 v4, |v79|
	v_cmp_gt_f32_e32 vcc, s0, v4
	v_cmp_gt_f32_e64 s[80:81], 0, v79
	v_cmp_class_f32_e64 s[28:29], v79, s2
	v_cndmask_b32_e64 v5, 1.0, 2.0, vcc
	v_mul_f32_e32 v4, v4, v5
	v_add_f32_e32 v7, 1.0, v4
	v_rcp_f32_e32 v72, v7
	v_add_f32_e32 v5, -1.0, v7
	v_sub_f32_e32 v61, v4, v5
	v_add_f32_e32 v5, -1.0, v4
	v_mul_f32_e32 v73, v5, v72
	v_mul_f32_e32 v6, v7, v73
	v_fma_f32 v60, v73, v7, -v6
	v_fmac_f32_e32 v60, v73, v61
	v_add_f32_e32 v4, v6, v60
	v_sub_f32_e32 v7, v5, v4
	v_pk_add_f32 v[62:63], v[4:5], v[6:7] neg_lo:[0,1] neg_hi:[0,1]
	v_mov_b32_e32 v61, v4
	v_pk_add_f32 v[4:5], v[62:63], v[60:61] neg_lo:[0,1] neg_hi:[0,1]
	s_nop 0
	v_add_f32_e32 v4, v4, v5
	v_add_f32_e32 v4, v7, v4
	v_mul_f32_e32 v5, v72, v4
	v_add_f32_e32 v4, v73, v5
	v_sub_f32_e32 v6, v4, v73
	v_sub_f32_e32 v74, v5, v6
	v_mul_f32_e32 v5, v4, v4
	v_fma_f32 v7, v4, v4, -v5
	v_add_f32_e32 v6, v74, v74
	v_fmac_f32_e32 v7, v4, v6
	v_add_f32_e32 v6, v5, v7
	v_fmamk_f32 v60, v6, 0x3e76c4e1, v41
	v_fmaak_f32 v60, v6, v60, 0x3ecccdef
	v_sub_f32_e32 v5, v6, v5
	v_sub_f32_e32 v75, v7, v5
	v_mul_f32_e32 v5, v6, v60
	v_fma_f32 v7, v6, v60, -v5
	v_fmac_f32_e32 v7, v75, v60
	v_add_f32_e32 v60, v5, v7
	v_add_f32_e32 v61, 0x3f2aaaaa, v60
	v_sub_f32_e32 v5, v60, v5
	v_sub_f32_e32 v5, v7, v5
	v_add_f32_e32 v7, 0xbf2aaaaa, v61
	v_add_f32_e32 v5, 0x31739010, v5
	v_sub_f32_e32 v7, v60, v7
	v_pk_mul_f32 v[62:63], v[4:5], v[6:7]
	v_pk_add_f32 v[72:73], v[4:5], v[6:7]
	v_fma_f32 v60, v6, v4, -v62
	v_fmac_f32_e32 v60, v6, v74
	v_mov_b32_e32 v63, v73
	v_fmac_f32_e32 v60, v75, v4
	v_pk_add_f32 v[6:7], v[62:63], v[60:61]
	v_ldexp_f32 v76, v74, 1
	v_sub_f32_e32 v5, v6, v62
	v_sub_f32_e32 v5, v60, v5
	;; [unrolled: 1-line block ×3, first 2 shown]
	v_add_f32_e32 v63, v73, v60
	v_pk_mul_f32 v[60:61], v[6:7], v[6:7] op_sel:[0,1] op_sel_hi:[1,0]
	v_ldexp_f32 v73, v4, 1
	v_fma_f32 v62, v6, v7, -v60
	v_fmac_f32_e32 v62, v6, v63
	v_fmac_f32_e32 v62, v5, v7
	v_cvt_f64_f32_e64 v[6:7], |v79|
	v_frexp_exp_i32_f64_e32 v5, v[6:7]
	v_subbrev_co_u32_e32 v5, vcc, 0, v5, vcc
	v_cvt_f32_i32_e32 v5, v5
	v_add_f32_e32 v7, v60, v62
	v_mov_b32_e32 v74, v7
	v_mov_b32_e32 v61, v73
	v_mul_f32_e32 v6, 0x3f317218, v5
	v_fma_f32 v72, v5, s1, -v6
	v_fmac_f32_e32 v72, 0xb102e308, v5
	v_pk_add_f32 v[4:5], v[6:7], v[72:73]
	v_mov_b32_e32 v63, v7
	v_mov_b32_e32 v75, v5
	v_pk_add_f32 v[60:61], v[74:75], v[60:61] neg_lo:[0,1] neg_hi:[0,1]
	v_mov_b32_e32 v73, v4
	v_pk_add_f32 v[60:61], v[62:63], v[60:61] neg_lo:[0,1] neg_hi:[0,1]
	s_nop 0
	v_add_f32_e32 v7, v76, v60
	v_add_f32_e32 v7, v7, v61
	v_pk_add_f32 v[60:61], v[4:5], v[6:7] neg_lo:[0,1] neg_hi:[0,1]
	v_pk_add_f32 v[62:63], v[4:5], v[6:7]
	v_mov_b32_e32 v6, v7
	v_mov_b32_e32 v61, v63
	v_pk_add_f32 v[74:75], v[72:73], v[60:61] neg_lo:[0,1] neg_hi:[0,1]
	v_pk_add_f32 v[60:61], v[72:73], v[60:61]
	v_mov_b32_e32 v7, v4
	v_pk_add_f32 v[72:73], v[60:61], v[4:5] op_sel:[1,0] op_sel_hi:[0,1] neg_lo:[0,1] neg_hi:[0,1]
	v_pk_add_f32 v[76:77], v[62:63], v[72:73] op_sel_hi:[1,0] neg_lo:[0,1] neg_hi:[0,1]
	v_mov_b32_e32 v62, v63
	v_mov_b32_e32 v63, v61
	v_pk_mov_b32 v[72:73], v[4:5], v[72:73] op_sel:[1,0]
	v_mov_b32_e32 v76, v74
	v_pk_add_f32 v[62:63], v[62:63], v[72:73] neg_lo:[0,1] neg_hi:[0,1]
	v_mov_b32_e32 v75, v61
	v_pk_add_f32 v[4:5], v[6:7], v[62:63] neg_lo:[0,1] neg_hi:[0,1]
	s_nop 0
	v_pk_add_f32 v[6:7], v[76:77], v[4:5]
	s_nop 0
	v_pk_add_f32 v[62:63], v[6:7], v[6:7] op_sel:[0,1] op_sel_hi:[1,0]
	s_nop 0
	v_pk_add_f32 v[60:61], v[60:61], v[62:63] op_sel:[1,0] op_sel_hi:[0,1]
	v_mov_b32_e32 v7, v60
	v_pk_add_f32 v[72:73], v[6:7], v[74:75] neg_lo:[0,1] neg_hi:[0,1]
	v_mov_b32_e32 v5, v62
	v_sub_f32_e32 v6, v6, v72
	v_pk_add_f32 v[4:5], v[4:5], v[72:73] neg_lo:[0,1] neg_hi:[0,1]
	v_sub_f32_e32 v6, v74, v6
	v_add_f32_e32 v4, v4, v6
	v_add_f32_e32 v4, v4, v5
	v_add_f32_e32 v5, v60, v4
	v_sub_f32_e32 v6, v5, v60
	v_sub_f32_e32 v4, v4, v6
	v_mul_f32_e32 v6, v78, v5
	v_fma_f32 v5, v78, v5, -v6
	v_fmac_f32_e32 v5, v78, v4
	v_add_f32_e32 v4, v6, v5
	v_cmp_class_f32_e64 vcc, v6, s2
	v_sub_f32_e32 v7, v4, v6
	v_sub_f32_e32 v5, v5, v7
	v_cndmask_b32_e32 v4, v4, v6, vcc
	v_cmp_neq_f32_e64 vcc, |v4|, s99
	s_nop 1
	v_cndmask_b32_e32 v5, 0, v5, vcc
	v_cmp_eq_f32_e32 vcc, s98, v4
	s_nop 1
	v_cndmask_b32_e32 v6, 0, v42, vcc
	v_sub_f32_e32 v4, v4, v6
	v_add_f32_e32 v5, v6, v5
	v_mul_f32_e32 v6, 0x3fb8aa3b, v4
	v_fma_f32 v7, v4, s62, -v6
	v_rndne_f32_e32 v60, v6
	v_fmac_f32_e32 v7, 0x32a5705f, v4
	v_sub_f32_e32 v6, v6, v60
	v_add_f32_e32 v6, v6, v7
	v_exp_f32_e32 v6, v6
	v_cvt_i32_f32_e32 v7, v60
	v_cmp_ngt_f32_e32 vcc, s63, v4
	v_ldexp_f32 v6, v6, v7
	s_nop 0
	v_cndmask_b32_e32 v6, 0, v6, vcc
	v_cmp_nlt_f32_e32 vcc, s98, v4
	s_nop 1
	v_cndmask_b32_e32 v4, v69, v6, vcc
	v_fma_f32 v5, v4, v5, v4
	v_cmp_class_f32_e64 vcc, v4, s2
	s_nop 1
	v_cndmask_b32_e32 v4, v5, v4, vcc
	v_trunc_f32_e32 v5, v78
	v_cmp_eq_f32_e32 vcc, v5, v78
	v_mul_f32_e32 v5, 0.5, v78
	v_trunc_f32_e32 v6, v5
	v_cmp_neq_f32_e64 s[70:71], v6, v5
	s_and_b64 s[70:71], vcc, s[70:71]
	s_nop 0
	v_cndmask_b32_e64 v5, 1.0, v79, s[70:71]
	v_bfi_b32 v4, s3, v4, v5
	v_cndmask_b32_e32 v5, v43, v4, vcc
	v_cmp_eq_f32_e32 vcc, 0, v79
	v_cndmask_b32_e64 v4, v4, v5, s[80:81]
	s_or_b64 s[80:81], vcc, s[28:29]
	s_xor_b64 s[28:29], s[82:83], vcc
	v_cndmask_b32_e64 v5, v69, 0, s[28:29]
	v_cndmask_b32_e64 v6, 0, v79, s[70:71]
	v_bfi_b32 v5, s3, v5, v6
	v_mad_u64_u32 v[6:7], s[28:29], s58, 28, v[0:1]
	v_cndmask_b32_e64 v4, v4, v5, s[80:81]
	scratch_load_dword v5, v6, off
	v_cmp_o_f32_e32 vcc, v79, v79
	s_add_i32 s28, s58, 1
	v_add_u32_e32 v1, -1, v1
	v_cndmask_b32_e32 v4, v43, v4, vcc
	v_mul_f32_e32 v4, v4, v59
	v_cmp_eq_u32_e32 vcc, s58, v26
	s_or_b64 s[24:25], vcc, s[24:25]
	s_mov_b32 s58, s28
	s_waitcnt vmcnt(0)
	v_fmac_f32_e32 v56, v5, v4
	s_andn2_b64 exec, exec, s[24:25]
	s_cbranch_execz .LBB0_438
.LBB0_412:                              ;   Parent Loop BB0_225 Depth=1
                                        ;     Parent Loop BB0_405 Depth=2
                                        ; =>    This Loop Header: Depth=3
                                        ;         Child Loop BB0_415 Depth 4
                                        ;         Child Loop BB0_419 Depth 4
                                        ;         Child Loop BB0_425 Depth 4
                                        ;         Child Loop BB0_429 Depth 4
                                        ;         Child Loop BB0_433 Depth 4
                                        ;         Child Loop BB0_437 Depth 4
	v_mov_b32_e32 v59, 1
	s_and_saveexec_b64 s[70:71], s[78:79]
	s_cbranch_execz .LBB0_422
; %bb.413:                              ;   in Loop: Header=BB0_412 Depth=3
	s_mov_b64 vcc, -1
	v_mov_b32_e32 v4, 2
	v_mov_b32_e32 v59, 1
	s_and_saveexec_b64 s[80:81], s[54:55]
	s_cbranch_execz .LBB0_417
; %bb.414:                              ;   in Loop: Header=BB0_412 Depth=3
	s_mov_b32 s82, 1
	s_mov_b32 s59, 3
	;; [unrolled: 1-line block ×3, first 2 shown]
	s_mov_b64 s[96:97], 0
	v_mov_b32_e32 v59, v103
	s_mov_b32 s83, s82
	s_mov_b32 s28, s82
	;; [unrolled: 1-line block ×3, first 2 shown]
.LBB0_415:                              ;   Parent Loop BB0_225 Depth=1
                                        ;     Parent Loop BB0_405 Depth=2
                                        ;       Parent Loop BB0_412 Depth=3
                                        ; =>      This Inner Loop Header: Depth=4
	s_add_i32 s61, s60, 2
	s_add_i32 vcc_lo, s59, 2
	v_add_u32_e32 v59, -4, v59
	s_mul_i32 s83, s83, s59
	s_mul_i32 s82, s82, s60
	s_add_i32 s60, s60, 4
	s_add_i32 s59, s59, 4
	s_mul_i32 s29, s29, vcc_lo
	s_mul_i32 s28, s28, s61
	v_cmp_eq_u32_e32 vcc, 0, v59
	v_mov_b64_e32 v[4:5], s[82:83]
	s_or_b64 s[96:97], vcc, s[96:97]
	v_mov_b64_e32 v[6:7], s[28:29]
	s_andn2_b64 exec, exec, s[96:97]
	s_cbranch_execnz .LBB0_415
; %bb.416:                              ;   in Loop: Header=BB0_412 Depth=3
	s_or_b64 exec, exec, s[96:97]
	v_mul_lo_u32 v5, v7, v5
	v_mul_lo_u32 v4, v6, v4
	v_mul_lo_u32 v59, v4, v5
	s_orn2_b64 vcc, s[64:65], exec
	v_mov_b32_e32 v4, v112
.LBB0_417:                              ;   in Loop: Header=BB0_412 Depth=3
	s_or_b64 exec, exec, s[80:81]
	s_and_saveexec_b64 s[28:29], vcc
	s_cbranch_execz .LBB0_421
; %bb.418:                              ;   in Loop: Header=BB0_412 Depth=3
	s_mov_b64 s[80:81], 0
.LBB0_419:                              ;   Parent Loop BB0_225 Depth=1
                                        ;     Parent Loop BB0_405 Depth=2
                                        ;       Parent Loop BB0_412 Depth=3
                                        ; =>      This Inner Loop Header: Depth=4
	v_mul_lo_u32 v59, v59, v4
	v_add_u32_e32 v4, 1, v4
	v_cmp_eq_u32_e32 vcc, v119, v4
	s_or_b64 s[80:81], vcc, s[80:81]
	s_andn2_b64 exec, exec, s[80:81]
	s_cbranch_execnz .LBB0_419
; %bb.420:                              ;   in Loop: Header=BB0_412 Depth=3
	s_or_b64 exec, exec, s[80:81]
.LBB0_421:                              ;   in Loop: Header=BB0_412 Depth=3
	s_or_b64 exec, exec, s[28:29]
.LBB0_422:                              ;   in Loop: Header=BB0_412 Depth=3
	s_or_b64 exec, exec, s[70:71]
	s_cmp_lt_u32 s58, 2
	s_mov_b32 s59, 1
	s_cbranch_scc1 .LBB0_430
; %bb.423:                              ;   in Loop: Header=BB0_412 Depth=3
	s_cmp_lt_u32 s58, 5
	s_cbranch_scc1 .LBB0_427
; %bb.424:                              ;   in Loop: Header=BB0_412 Depth=3
	s_and_b32 s29, s23, -4
	s_mov_b32 s28, 1
	s_mov_b32 s59, 3
	;; [unrolled: 1-line block ×4, first 2 shown]
	s_mov_b32 vcc_lo, 1
	s_mov_b32 vcc_hi, 1
.LBB0_425:                              ;   Parent Loop BB0_225 Depth=1
                                        ;     Parent Loop BB0_405 Depth=2
                                        ;       Parent Loop BB0_412 Depth=3
                                        ; =>      This Inner Loop Header: Depth=4
	s_add_i32 s70, s60, 2
	s_add_i32 s71, s59, 2
	s_mul_i32 s61, s61, s59
	s_mul_i32 s28, s28, s60
	s_add_i32 s60, s60, 4
	s_add_i32 s59, s59, 4
	s_add_i32 s29, s29, -4
	s_mul_i32 vcc_hi, vcc_hi, s71
	s_cmp_lg_u32 s29, 0
	s_mul_i32 vcc_lo, vcc_lo, s70
	s_cbranch_scc1 .LBB0_425
; %bb.426:                              ;   in Loop: Header=BB0_412 Depth=3
	s_add_i32 s29, s58, -1
	s_and_b32 s70, s29, -4
	s_or_b32 s60, s70, 2
	s_mul_i32 s59, vcc_hi, s61
	s_mul_i32 s28, vcc_lo, s28
	s_cmp_lg_u32 s29, s70
	s_mul_i32 s59, s28, s59
	s_cselect_b64 s[28:29], -1, 0
	s_and_b64 vcc, exec, s[28:29]
	s_cbranch_vccnz .LBB0_428
	s_branch .LBB0_430
.LBB0_427:                              ;   in Loop: Header=BB0_412 Depth=3
	s_mov_b32 s60, 2
	s_cbranch_execz .LBB0_430
.LBB0_428:                              ;   in Loop: Header=BB0_412 Depth=3
	s_add_i32 s28, s58, 1
.LBB0_429:                              ;   Parent Loop BB0_225 Depth=1
                                        ;     Parent Loop BB0_405 Depth=2
                                        ;       Parent Loop BB0_412 Depth=3
                                        ; =>      This Inner Loop Header: Depth=4
	s_mul_i32 s59, s59, s60
	s_add_i32 s60, s60, 1
	s_cmp_lg_u32 s28, s60
	s_cbranch_scc1 .LBB0_429
.LBB0_430:                              ;   in Loop: Header=BB0_412 Depth=3
	v_subrev_u32_e32 v60, s58, v26
	v_mov_b32_e32 v4, 1
	v_cmp_lt_i32_e32 vcc, 1, v60
	s_and_saveexec_b64 s[70:71], vcc
	s_cbranch_execz .LBB0_411
; %bb.431:                              ;   in Loop: Header=BB0_412 Depth=3
	v_subrev_u32_e32 v61, s58, v37
	v_cmp_lt_u32_e32 vcc, 3, v61
	s_mov_b64 s[82:83], -1
	v_mov_b32_e32 v62, 2
	v_mov_b32_e32 v4, 1
	s_and_saveexec_b64 s[80:81], vcc
	s_cbranch_execz .LBB0_435
; %bb.432:                              ;   in Loop: Header=BB0_412 Depth=3
	s_mov_b32 s82, 1
	v_and_b32_e32 v62, -4, v58
	s_mov_b32 s60, 3
	s_mov_b32 s61, 2
	s_mov_b64 s[96:97], 0
	s_mov_b32 s83, s82
	s_mov_b32 s28, s82
	s_mov_b32 s29, s82
.LBB0_433:                              ;   Parent Loop BB0_225 Depth=1
                                        ;     Parent Loop BB0_405 Depth=2
                                        ;       Parent Loop BB0_412 Depth=3
                                        ; =>      This Inner Loop Header: Depth=4
	s_add_i32 vcc_lo, s61, 2
	s_add_i32 vcc_hi, s60, 2
	v_add_u32_e32 v62, -4, v62
	s_mul_i32 s83, s83, s60
	s_mul_i32 s82, s82, s61
	s_add_i32 s61, s61, 4
	s_add_i32 s60, s60, 4
	s_mul_i32 s29, s29, vcc_hi
	s_mul_i32 s28, s28, vcc_lo
	v_cmp_eq_u32_e32 vcc, 0, v62
	v_mov_b64_e32 v[4:5], s[82:83]
	s_or_b64 s[96:97], vcc, s[96:97]
	v_mov_b64_e32 v[6:7], s[28:29]
	s_andn2_b64 exec, exec, s[96:97]
	s_cbranch_execnz .LBB0_433
; %bb.434:                              ;   in Loop: Header=BB0_412 Depth=3
	s_or_b64 exec, exec, s[96:97]
	v_and_b32_e32 v63, -4, v61
	v_mul_lo_u32 v5, v7, v5
	v_mul_lo_u32 v4, v6, v4
	v_cmp_ne_u32_e32 vcc, v61, v63
	v_or_b32_e32 v62, 2, v63
	v_mul_lo_u32 v4, v4, v5
	s_orn2_b64 s[82:83], vcc, exec
.LBB0_435:                              ;   in Loop: Header=BB0_412 Depth=3
	s_or_b64 exec, exec, s[80:81]
	s_and_saveexec_b64 s[28:29], s[82:83]
	s_cbranch_execz .LBB0_410
; %bb.436:                              ;   in Loop: Header=BB0_412 Depth=3
	s_mov_b64 s[80:81], 0
.LBB0_437:                              ;   Parent Loop BB0_225 Depth=1
                                        ;     Parent Loop BB0_405 Depth=2
                                        ;       Parent Loop BB0_412 Depth=3
                                        ; =>      This Inner Loop Header: Depth=4
	v_mul_lo_u32 v4, v4, v62
	v_add_u32_e32 v62, 1, v62
	v_cmp_eq_u32_e32 vcc, v1, v62
	s_or_b64 s[80:81], vcc, s[80:81]
	s_andn2_b64 exec, exec, s[80:81]
	s_cbranch_execnz .LBB0_437
	s_branch .LBB0_409
.LBB0_438:                              ;   in Loop: Header=BB0_405 Depth=2
	s_or_b64 exec, exec, s[24:25]
	s_or_b64 exec, exec, s[8:9]
	v_mov_b32_e32 v6, 1
	s_and_saveexec_b64 s[8:9], s[90:91]
	s_cbranch_execz .LBB0_407
.LBB0_439:                              ;   in Loop: Header=BB0_405 Depth=2
	s_mov_b64 s[28:29], -1
	v_mov_b32_e32 v0, 2
	v_mov_b32_e32 v6, 1
	s_and_saveexec_b64 s[24:25], s[66:67]
	s_cbranch_execz .LBB0_443
; %bb.440:                              ;   in Loop: Header=BB0_405 Depth=2
	s_mov_b32 s70, 1
	s_mov_b32 s23, 3
	;; [unrolled: 1-line block ×3, first 2 shown]
	s_mov_b64 s[80:81], 0
	v_mov_b32_e32 v6, v113
	s_mov_b32 s71, s70
	s_mov_b32 s28, s70
	;; [unrolled: 1-line block ×3, first 2 shown]
.LBB0_441:                              ;   Parent Loop BB0_225 Depth=1
                                        ;     Parent Loop BB0_405 Depth=2
                                        ; =>    This Inner Loop Header: Depth=3
	s_add_i32 s59, s58, 2
	s_add_i32 s60, s23, 2
	v_add_u32_e32 v6, -4, v6
	s_mul_i32 s71, s71, s23
	s_mul_i32 s70, s70, s58
	s_add_i32 s58, s58, 4
	s_add_i32 s23, s23, 4
	s_mul_i32 s29, s29, s60
	s_mul_i32 s28, s28, s59
	v_cmp_eq_u32_e32 vcc, 0, v6
	v_mov_b64_e32 v[0:1], s[70:71]
	s_or_b64 s[80:81], vcc, s[80:81]
	v_mov_b64_e32 v[4:5], s[28:29]
	s_andn2_b64 exec, exec, s[80:81]
	s_cbranch_execnz .LBB0_441
; %bb.442:                              ;   in Loop: Header=BB0_405 Depth=2
	s_or_b64 exec, exec, s[80:81]
	v_mul_lo_u32 v1, v5, v1
	v_mul_lo_u32 v0, v4, v0
	;; [unrolled: 1-line block ×3, first 2 shown]
	s_orn2_b64 s[28:29], s[68:69], exec
	v_mov_b32_e32 v0, v114
.LBB0_443:                              ;   in Loop: Header=BB0_405 Depth=2
	s_or_b64 exec, exec, s[24:25]
	s_and_saveexec_b64 s[24:25], s[28:29]
	s_cbranch_execz .LBB0_447
; %bb.444:                              ;   in Loop: Header=BB0_405 Depth=2
	s_mov_b64 s[28:29], 0
.LBB0_445:                              ;   Parent Loop BB0_225 Depth=1
                                        ;     Parent Loop BB0_405 Depth=2
                                        ; =>    This Inner Loop Header: Depth=3
	v_mul_lo_u32 v6, v6, v0
	v_add_u32_e32 v0, 1, v0
	v_cmp_eq_u32_e32 vcc, v40, v0
	s_or_b64 s[28:29], vcc, s[28:29]
	s_andn2_b64 exec, exec, s[28:29]
	s_cbranch_execnz .LBB0_445
; %bb.446:                              ;   in Loop: Header=BB0_405 Depth=2
	s_or_b64 exec, exec, s[28:29]
.LBB0_447:                              ;   in Loop: Header=BB0_405 Depth=2
	s_or_b64 exec, exec, s[24:25]
	s_or_b64 exec, exec, s[8:9]
	s_cmp_lt_u32 s22, 2
	s_mov_b32 s23, 1
	s_cbranch_scc1 .LBB0_455
.LBB0_448:                              ;   in Loop: Header=BB0_405 Depth=2
	s_cmp_lt_u32 s22, 5
	s_cbranch_scc1 .LBB0_452
; %bb.449:                              ;   in Loop: Header=BB0_405 Depth=2
	s_and_b32 s9, s21, -4
	s_mov_b32 s8, 1
	s_mov_b32 s23, 3
	;; [unrolled: 1-line block ×6, first 2 shown]
.LBB0_450:                              ;   Parent Loop BB0_225 Depth=1
                                        ;     Parent Loop BB0_405 Depth=2
                                        ; =>    This Inner Loop Header: Depth=3
	s_add_i32 s58, s24, 2
	s_add_i32 s59, s23, 2
	s_mul_i32 s25, s25, s23
	s_mul_i32 s8, s8, s24
	s_add_i32 s24, s24, 4
	s_add_i32 s23, s23, 4
	s_add_i32 s9, s9, -4
	s_mul_i32 s29, s29, s59
	s_cmp_lg_u32 s9, 0
	s_mul_i32 s28, s28, s58
	s_cbranch_scc1 .LBB0_450
; %bb.451:                              ;   in Loop: Header=BB0_405 Depth=2
	s_add_i32 s9, s22, -1
	s_and_b32 s58, s9, -4
	s_or_b32 s24, s58, 2
	s_mul_i32 s23, s29, s25
	s_mul_i32 s8, s28, s8
	s_cmp_lg_u32 s9, s58
	s_mul_i32 s23, s8, s23
	s_cselect_b64 s[8:9], -1, 0
	s_and_b64 vcc, exec, s[8:9]
	s_cbranch_vccnz .LBB0_453
	s_branch .LBB0_455
.LBB0_452:                              ;   in Loop: Header=BB0_405 Depth=2
	s_mov_b32 s24, 2
	s_cbranch_execz .LBB0_455
.LBB0_453:                              ;   in Loop: Header=BB0_405 Depth=2
	s_add_i32 s8, s22, 1
.LBB0_454:                              ;   Parent Loop BB0_225 Depth=1
                                        ;     Parent Loop BB0_405 Depth=2
                                        ; =>    This Inner Loop Header: Depth=3
	s_mul_i32 s23, s23, s24
	s_add_i32 s24, s24, 1
	s_cmp_lg_u32 s8, s24
	s_cbranch_scc1 .LBB0_454
.LBB0_455:                              ;   in Loop: Header=BB0_405 Depth=2
	v_subrev_u32_e32 v7, s22, v29
	v_mov_b32_e32 v0, 1
	v_cmp_lt_i32_e32 vcc, 1, v7
	s_and_saveexec_b64 s[8:9], vcc
	s_cbranch_execz .LBB0_404
; %bb.456:                              ;   in Loop: Header=BB0_405 Depth=2
	v_subrev_u32_e32 v58, s22, v34
	v_cmp_lt_u32_e32 vcc, 3, v58
	s_mov_b64 s[28:29], -1
	v_mov_b32_e32 v59, 2
	v_mov_b32_e32 v0, 1
	s_and_saveexec_b64 s[24:25], vcc
	s_cbranch_execz .LBB0_460
; %bb.457:                              ;   in Loop: Header=BB0_405 Depth=2
	s_mov_b32 s70, 1
	v_and_b32_e32 v59, -4, v47
	s_mov_b32 s58, 3
	s_mov_b32 s59, 2
	s_mov_b64 s[80:81], 0
	s_mov_b32 s71, s70
	s_mov_b32 s28, s70
	;; [unrolled: 1-line block ×3, first 2 shown]
.LBB0_458:                              ;   Parent Loop BB0_225 Depth=1
                                        ;     Parent Loop BB0_405 Depth=2
                                        ; =>    This Inner Loop Header: Depth=3
	s_add_i32 s60, s59, 2
	s_add_i32 s61, s58, 2
	v_add_u32_e32 v59, -4, v59
	s_mul_i32 s71, s71, s58
	s_mul_i32 s70, s70, s59
	s_add_i32 s59, s59, 4
	s_add_i32 s58, s58, 4
	s_mul_i32 s29, s29, s61
	s_mul_i32 s28, s28, s60
	v_cmp_eq_u32_e32 vcc, 0, v59
	v_mov_b64_e32 v[0:1], s[70:71]
	s_or_b64 s[80:81], vcc, s[80:81]
	v_mov_b64_e32 v[4:5], s[28:29]
	s_andn2_b64 exec, exec, s[80:81]
	s_cbranch_execnz .LBB0_458
; %bb.459:                              ;   in Loop: Header=BB0_405 Depth=2
	s_or_b64 exec, exec, s[80:81]
	v_and_b32_e32 v60, -4, v58
	v_mul_lo_u32 v1, v5, v1
	v_mul_lo_u32 v0, v4, v0
	v_cmp_ne_u32_e32 vcc, v58, v60
	v_or_b32_e32 v59, 2, v60
	v_mul_lo_u32 v0, v0, v1
	s_orn2_b64 s[28:29], vcc, exec
.LBB0_460:                              ;   in Loop: Header=BB0_405 Depth=2
	s_or_b64 exec, exec, s[24:25]
	s_and_saveexec_b64 s[24:25], s[28:29]
	s_cbranch_execz .LBB0_403
; %bb.461:                              ;   in Loop: Header=BB0_405 Depth=2
	s_mov_b64 s[28:29], 0
.LBB0_462:                              ;   Parent Loop BB0_225 Depth=1
                                        ;     Parent Loop BB0_405 Depth=2
                                        ; =>    This Inner Loop Header: Depth=3
	v_mul_lo_u32 v0, v0, v59
	v_add_u32_e32 v59, 1, v59
	v_cmp_eq_u32_e32 vcc, v46, v59
	s_or_b64 s[28:29], vcc, s[28:29]
	s_andn2_b64 exec, exec, s[28:29]
	s_cbranch_execnz .LBB0_462
; %bb.463:                              ;   in Loop: Header=BB0_405 Depth=2
	s_or_b64 exec, exec, s[28:29]
	s_branch .LBB0_403
.LBB0_464:
	s_or_b64 exec, exec, s[84:85]
	v_readlane_b32 s2, v92, 0
	v_readlane_b32 s3, v92, 1
.LBB0_465:
	s_or_b64 exec, exec, s[2:3]
	scratch_load_dword v90, off, s32        ; 4-byte Folded Reload
	scratch_load_dword v89, off, s32 offset:4 ; 4-byte Folded Reload
	scratch_load_dword v88, off, s32 offset:8 ; 4-byte Folded Reload
	;; [unrolled: 1-line block ×26, first 2 shown]
	s_mov_b32 s0, 0xf800000
	v_mul_f32_e32 v1, 0x4f800000, v30
	v_cmp_gt_f32_e32 vcc, s0, v30
	v_cvt_f32_f64_e32 v0, v[2:3]
	v_cvt_f32_f64_e32 v5, v[10:11]
	v_cndmask_b32_e32 v1, v30, v1, vcc
	v_sqrt_f32_e32 v2, v1
	v_cvt_f32_f64_e32 v4, v[14:15]
	v_cvt_f32_f64_e32 v3, v[18:19]
	v_readlane_b32 s30, v91, 34
	v_add_u32_e32 v6, -1, v2
	v_fma_f32 v7, -v6, v2, v1
	v_cmp_ge_f32_e64 s[0:1], 0, v7
	v_add_u32_e32 v7, 1, v2
	v_readlane_b32 s31, v91, 35
	v_cndmask_b32_e64 v6, v2, v6, s[0:1]
	v_fma_f32 v2, -v7, v2, v1
	v_cmp_lt_f32_e64 s[0:1], 0, v2
	v_readlane_b32 s99, v91, 33
	v_readlane_b32 s98, v91, 32
	v_cndmask_b32_e64 v2, v6, v7, s[0:1]
	v_mul_f32_e32 v6, 0x37800000, v2
	v_cndmask_b32_e32 v2, v2, v6, vcc
	v_mov_b32_e32 v6, 0x260
	v_cmp_class_f32_e32 vcc, v1, v6
	v_readlane_b32 s97, v91, 31
	v_readlane_b32 s96, v91, 30
	v_cndmask_b32_e32 v1, v2, v1, vcc
	v_mul_f32_e32 v1, 0x3f906ebb, v1
	v_mul_f32_e32 v1, v1, v5
	;; [unrolled: 1-line block ×6, first 2 shown]
	v_readlane_b32 s87, v91, 29
	v_readlane_b32 s86, v91, 28
	;; [unrolled: 1-line block ×30, first 2 shown]
	s_or_saveexec_b64 s[0:1], -1
	scratch_load_dword v91, off, s32 offset:372 ; 4-byte Folded Reload
	scratch_load_dword v92, off, s32 offset:376 ; 4-byte Folded Reload
	s_mov_b64 exec, s[0:1]
	s_waitcnt vmcnt(0)
	s_setpc_b64 s[30:31]
.LBB0_466:
	s_or_b64 exec, exec, s[0:1]
                                        ; implicit-def: $vgpr0
	s_andn2_saveexec_b64 s[0:1], s[8:9]
	s_cbranch_execnz .LBB0_175
.LBB0_467:
	s_or_b64 exec, exec, s[0:1]
                                        ; implicit-def: $vgpr0
	s_andn2_saveexec_b64 s[0:1], s[6:7]
	s_cbranch_execnz .LBB0_189
.LBB0_468:
	s_or_b64 exec, exec, s[0:1]
                                        ; implicit-def: $vgpr0
	s_andn2_saveexec_b64 s[0:1], s[4:5]
	s_cbranch_execnz .LBB0_203
	s_branch .LBB0_216
.Lfunc_end0:
	.size	_Z12cuda_rys_pbfPKdS0_S0_S0_, .Lfunc_end0-_Z12cuda_rys_pbfPKdS0_S0_S0_
                                        ; -- End function
	.set .L_Z12cuda_rys_pbfPKdS0_S0_S0_.num_vgpr, 120
	.set .L_Z12cuda_rys_pbfPKdS0_S0_S0_.num_agpr, 0
	.set .L_Z12cuda_rys_pbfPKdS0_S0_S0_.numbered_sgpr, 100
	.set .L_Z12cuda_rys_pbfPKdS0_S0_S0_.num_named_barrier, 0
	.set .L_Z12cuda_rys_pbfPKdS0_S0_S0_.private_seg_size, 384
	.set .L_Z12cuda_rys_pbfPKdS0_S0_S0_.uses_vcc, 1
	.set .L_Z12cuda_rys_pbfPKdS0_S0_S0_.uses_flat_scratch, 0
	.set .L_Z12cuda_rys_pbfPKdS0_S0_S0_.has_dyn_sized_stack, 0
	.set .L_Z12cuda_rys_pbfPKdS0_S0_S0_.has_recursion, 0
	.set .L_Z12cuda_rys_pbfPKdS0_S0_S0_.has_indirect_call, 0
	.section	.AMDGPU.csdata,"",@progbits
; Function info:
; codeLenInByte = 61132
; TotalNumSgprs: 106
; NumVgprs: 120
; NumAgprs: 0
; TotalNumVgprs: 120
; ScratchSize: 384
; MemoryBound: 0
	.text
	.protected	_Z13cuda_mat_J_PIPKdPKiiS0_PdS0_ ; -- Begin function _Z13cuda_mat_J_PIPKdPKiiS0_PdS0_
	.globl	_Z13cuda_mat_J_PIPKdPKiiS0_PdS0_
	.p2align	8
	.type	_Z13cuda_mat_J_PIPKdPKiiS0_PdS0_,@function
_Z13cuda_mat_J_PIPKdPKiiS0_PdS0_:       ; @_Z13cuda_mat_J_PIPKdPKiiS0_PdS0_
; %bb.0:
	s_load_dword s7, s[0:1], 0x10
	s_mov_b32 s4, s3
                                        ; implicit-def: $vgpr47 : SGPR spill to VGPR lane
	s_mov_b32 s32, 0
	v_writelane_b32 v47, s4, 0
	s_waitcnt lgkmcnt(0)
	s_cmp_ge_i32 s2, s7
	v_writelane_b32 v47, s5, 1
	s_mov_b32 s4, s2
	s_cselect_b64 s[8:9], -1, 0
	v_writelane_b32 v47, s4, 2
	s_cmp_gt_i32 s3, s2
	s_nop 0
	v_writelane_b32 v47, s5, 3
	s_cselect_b64 s[4:5], -1, 0
	s_or_b64 s[2:3], s[4:5], s[8:9]
	s_and_b64 vcc, exec, s[2:3]
	s_cbranch_vccnz .LBB1_12
; %bb.1:
	s_load_dwordx2 s[2:3], s[0:1], 0x20
	v_bfe_u32 v41, v0, 10, 10
	v_and_b32_e32 v40, 0x3ff, v0
	v_lshlrev_b32_e32 v42, 3, v41
	v_mov_b32_e32 v95, 0
	s_waitcnt lgkmcnt(0)
	v_writelane_b32 v47, s2, 4
	v_lshl_add_u32 v43, v40, 6, v42
	v_mov_b32_e32 v94, v95
	v_writelane_b32 v47, s3, 5
	ds_write_b64 v43, v[94:95]
	v_writelane_b32 v47, s7, 6
	v_cmp_gt_i32_e32 vcc, s7, v40
	s_mov_b64 s[2:3], exec
	v_writelane_b32 v47, s2, 7
	s_nop 1
	v_writelane_b32 v47, s3, 8
	s_and_b64 s[2:3], s[2:3], vcc
	s_mov_b64 exec, s[2:3]
	s_cbranch_execz .LBB1_10
; %bb.2:
	s_load_dwordx4 s[8:11], s[0:1], 0x0
	s_load_dwordx2 s[2:3], s[0:1], 0x18
	v_lshlrev_b32_e32 v94, 2, v41
	v_mov_b64_e32 v[106:107], 0
	v_mov_b32_e32 v44, 0x3ff00000
	v_mov_b32_e32 v108, v40
	s_waitcnt lgkmcnt(0)
	v_writelane_b32 v47, s2, 9
	s_nop 1
	v_writelane_b32 v47, s3, 10
	s_nop 0
	v_readlane_b32 s2, v47, 2
	v_readlane_b32 s3, v47, 3
	s_mov_b32 s4, s2
	s_lshl_b32 s2, s2, 3
	s_ashr_i32 s3, s2, 31
	s_lshl_b64 s[2:3], s[2:3], 3
	s_add_u32 s2, s8, s2
	v_writelane_b32 v47, s2, 11
	s_addc_u32 s2, s9, s3
	v_writelane_b32 v47, s2, 12
	s_nop 0
	v_readlane_b32 s2, v47, 0
	v_readlane_b32 s3, v47, 1
	s_mov_b32 s6, s2
	s_lshl_b32 s2, s2, 3
	s_ashr_i32 s3, s2, 31
	s_lshl_b64 s[2:3], s[2:3], 3
	s_add_u32 s2, s8, s2
	v_writelane_b32 v47, s2, 13
	s_mov_b32 s2, s4
	s_addc_u32 s33, s9, s3
	s_ashr_i32 s5, s4, 31
	v_writelane_b32 v47, s2, 2
	s_nop 1
	v_writelane_b32 v47, s3, 3
	s_lshl_b64 s[2:3], s[4:5], 2
	s_add_u32 s2, s10, s2
	s_mov_b32 s4, s6
	s_addc_u32 s3, s11, s3
	s_ashr_i32 s7, s6, 31
	v_writelane_b32 v47, s4, 0
	s_nop 1
	v_writelane_b32 v47, s5, 1
	s_lshl_b64 s[4:5], s[6:7], 2
	s_add_u32 s4, s10, s4
	s_addc_u32 s5, s11, s5
	s_load_dword s6, s[2:3], 0x0
	s_load_dword s7, s[4:5], 0x0
	s_load_dwordx2 s[12:13], s[0:1], 0x28
	s_mov_b64 s[2:3], 0
	s_waitcnt lgkmcnt(0)
	s_max_i32 s0, s6, s7
	s_add_i32 s1, s0, 1
	s_mul_i32 s0, s1, s0
	s_lshr_b32 s1, s0, 31
	s_add_i32 s0, s0, s1
	s_ashr_i32 s0, s0, 1
	s_min_i32 s1, s6, s7
	s_add_i32 s0, s0, s1
	s_ashr_i32 s1, s0, 31
	s_lshl_b64 s[0:1], s[0:1], 3
	s_add_u32 s0, s12, s0
	v_writelane_b32 v47, s12, 14
	s_addc_u32 s1, s13, s1
	s_nop 0
	v_writelane_b32 v47, s13, 15
	v_writelane_b32 v47, s0, 16
	s_nop 1
	v_writelane_b32 v47, s1, 17
	v_writelane_b32 v47, s8, 18
	;; [unrolled: 3-line block ×3, first 2 shown]
	v_lshl_add_u64 v[104:105], s[10:11], 0, v[94:95]
	v_writelane_b32 v47, s11, 21
	s_branch .LBB1_5
.LBB1_3:                                ;   in Loop: Header=BB1_5 Depth=1
	s_or_b64 exec, exec, s[0:1]
	v_readlane_b32 s2, v47, 24
	v_readlane_b32 s3, v47, 25
.LBB1_4:                                ;   in Loop: Header=BB1_5 Depth=1
	v_readlane_b32 s0, v47, 22
	v_readlane_b32 s1, v47, 23
	s_or_b64 exec, exec, s[0:1]
	v_add_u32_e32 v108, 8, v108
	v_readlane_b32 s0, v47, 6
	s_nop 1
	v_cmp_le_i32_e32 vcc, s0, v108
	s_or_b64 s[2:3], vcc, s[2:3]
	s_andn2_b64 exec, exec, s[2:3]
	s_cbranch_execz .LBB1_10
.LBB1_5:                                ; =>This Loop Header: Depth=1
                                        ;     Child Loop BB1_8 Depth 2
	v_cmp_le_u32_e32 vcc, v41, v108
	s_mov_b64 s[0:1], exec
	v_writelane_b32 v47, s0, 22
	s_nop 1
	v_writelane_b32 v47, s1, 23
	s_and_b64 s[0:1], s[0:1], vcc
	s_mov_b64 exec, s[0:1]
	s_cbranch_execz .LBB1_4
; %bb.6:                                ;   in Loop: Header=BB1_5 Depth=1
	v_writelane_b32 v47, s2, 24
	v_mov_b32_e32 v109, v95
	v_lshlrev_b32_e32 v94, 3, v108
	v_writelane_b32 v47, s3, 25
	v_mov_b64_e32 v[110:111], v[104:105]
	v_readlane_b32 s0, v47, 18
	v_readlane_b32 s2, v47, 20
	;; [unrolled: 1-line block ×4, first 2 shown]
	v_mov_b32_e32 v46, v41
	v_lshl_add_u64 v[0:1], v[108:109], 2, s[2:3]
	global_load_dword v45, v[0:1], off
	v_lshl_add_u64 v[88:89], v[94:95], 3, s[0:1]
	v_readlane_b32 s0, v47, 16
	v_readlane_b32 s1, v47, 17
	s_load_dwordx2 s[0:1], s[0:1], 0x0
	v_mov_b32_e32 v94, v42
	s_waitcnt lgkmcnt(0)
	v_writelane_b32 v47, s0, 26
	s_nop 1
	v_writelane_b32 v47, s1, 27
	s_mov_b64 s[0:1], 0
	s_branch .LBB1_8
.LBB1_7:                                ;   in Loop: Header=BB1_8 Depth=2
	v_readlane_b32 s0, v47, 30
	v_readlane_b32 s1, v47, 31
	s_or_b64 exec, exec, s[0:1]
	v_add_u32_e32 v46, 8, v46
	v_readlane_b32 s0, v47, 28
	v_cmp_gt_u32_e32 vcc, v46, v108
	v_readlane_b32 s1, v47, 29
	v_lshl_add_u64 v[110:111], v[110:111], 0, 32
	s_or_b64 s[0:1], vcc, s[0:1]
	v_add_u32_e32 v94, 64, v94
	s_andn2_b64 exec, exec, s[0:1]
	s_cbranch_execz .LBB1_3
.LBB1_8:                                ;   Parent Loop BB1_5 Depth=1
                                        ; =>  This Inner Loop Header: Depth=2
	global_load_dword v0, v[110:111], off
	v_writelane_b32 v47, s0, 28
	s_waitcnt vmcnt(0)
	v_min_i32_e32 v2, v45, v0
	v_max_i32_e32 v0, v45, v0
	v_writelane_b32 v47, s1, 29
	v_mad_u64_u32 v[0:1], s[0:1], v0, v0, v[0:1]
	v_lshrrev_b32_e32 v1, 31, v0
	v_add_u32_e32 v0, v0, v1
	v_ashrrev_i32_e32 v0, 1, v0
	v_add_u32_e32 v0, v0, v2
	v_ashrrev_i32_e32 v1, 31, v0
	v_readlane_b32 s0, v47, 14
	v_lshlrev_b64 v[0:1], 3, v[0:1]
	v_readlane_b32 s1, v47, 15
	s_nop 1
	v_lshl_add_u64 v[2:3], s[0:1], 0, v[0:1]
	v_readlane_b32 s0, v47, 9
	v_readlane_b32 s1, v47, 10
	global_load_dwordx2 v[2:3], v[2:3], off
	s_nop 0
	v_lshl_add_u64 v[0:1], s[0:1], 0, v[0:1]
	global_load_dwordx2 v[120:121], v[0:1], off
	v_readlane_b32 s0, v47, 26
	v_readlane_b32 s1, v47, 27
	s_waitcnt vmcnt(1)
	s_nop 0
	v_mul_f64 v[0:1], s[0:1], v[2:3]
	s_mov_b32 s0, 0x97d889bc
	s_mov_b32 s1, 0x3c9cd2b2
	s_waitcnt vmcnt(0)
	v_mul_f64 v[0:1], v[0:1], v[120:121]
	v_cmp_nlt_f64_e64 s[0:1], |v[0:1]|, s[0:1]
	s_mov_b64 s[2:3], exec
	v_writelane_b32 v47, s2, 30
	s_and_b64 s[0:1], s[2:3], s[0:1]
	s_nop 0
	v_writelane_b32 v47, s3, 31
	s_mov_b64 exec, s[0:1]
	s_cbranch_execz .LBB1_7
; %bb.9:                                ;   in Loop: Header=BB1_8 Depth=2
	v_readlane_b32 s0, v47, 18
	v_readlane_b32 s2, v47, 20
	v_readlane_b32 s2, v47, 11
	v_readlane_b32 s1, v47, 19
	v_mov_b32_e32 v3, s33
	v_mov_b32_e32 v0, s2
	v_readlane_b32 s2, v47, 12
	v_lshl_add_u64 v[6:7], v[94:95], 3, s[0:1]
	s_getpc_b64 s[0:1]
	s_add_u32 s0, s0, _Z12cuda_rys_pbfPKdS0_S0_S0_@rel32@lo+4
	s_addc_u32 s1, s1, _Z12cuda_rys_pbfPKdS0_S0_S0_@rel32@hi+12
	v_mov_b32_e32 v1, s2
	v_readlane_b32 s2, v47, 13
	v_mov_b32_e32 v4, v88
	v_mov_b32_e32 v5, v89
	;; [unrolled: 1-line block ×3, first 2 shown]
	v_readlane_b32 s3, v47, 21
	s_swappc_b64 s[30:31], s[0:1]
	v_cvt_f64_f32_e32 v[0:1], v0
	v_cmp_eq_u32_e32 vcc, v108, v46
	v_mul_f64 v[0:1], v[120:121], v[0:1]
	v_mov_b32_e32 v2, v95
	v_cndmask_b32_e32 v3, 2.0, v44, vcc
	v_fmac_f64_e32 v[106:107], v[2:3], v[0:1]
	ds_write_b64 v43, v[106:107]
	s_branch .LBB1_7
.LBB1_10:
	v_readlane_b32 s0, v47, 7
	v_readlane_b32 s1, v47, 8
	s_or_b64 exec, exec, s[0:1]
	v_or_b32_e32 v0, v40, v41
	v_cmp_eq_u32_e32 vcc, 0, v0
	s_waitcnt lgkmcnt(0)
	s_barrier
	s_and_saveexec_b64 s[0:1], vcc
	s_cbranch_execz .LBB1_12
; %bb.11:
	v_mov_b32_e32 v0, 0
	ds_read_b128 v[2:5], v0
	ds_read_b128 v[6:9], v0 offset:16
	ds_read_b128 v[10:13], v0 offset:32
	;; [unrolled: 1-line block ×3, first 2 shown]
	v_readlane_b32 s0, v47, 2
	s_mov_b32 s2, s0
	s_add_i32 s0, s0, 1
	s_waitcnt lgkmcnt(3)
	v_add_f64 v[2:3], v[2:3], 0
	v_add_f64 v[2:3], v[4:5], v[2:3]
	s_waitcnt lgkmcnt(2)
	v_add_f64 v[2:3], v[6:7], v[2:3]
	v_add_f64 v[2:3], v[8:9], v[2:3]
	s_waitcnt lgkmcnt(1)
	v_add_f64 v[6:7], v[10:11], v[2:3]
	ds_read_b128 v[2:5], v0 offset:64
	v_add_f64 v[6:7], v[12:13], v[6:7]
	s_waitcnt lgkmcnt(1)
	v_add_f64 v[10:11], v[14:15], v[6:7]
	ds_read_b128 v[6:9], v0 offset:80
	;; [unrolled: 4-line block ×25, first 2 shown]
	v_add_f64 v[6:7], v[8:9], v[6:7]
	s_waitcnt lgkmcnt(1)
	v_add_f64 v[6:7], v[10:11], v[6:7]
	v_add_f64 v[10:11], v[12:13], v[6:7]
	ds_read_b128 v[6:9], v0 offset:464
	v_readlane_b32 s1, v47, 3
	s_mul_i32 s0, s0, s2
	s_waitcnt lgkmcnt(1)
	v_add_f64 v[2:3], v[2:3], v[10:11]
	ds_read_b128 v[10:13], v0 offset:480
	s_lshr_b32 s1, s0, 31
	s_add_i32 s0, s0, s1
	v_add_f64 v[14:15], v[4:5], v[2:3]
	ds_read_b128 v[2:5], v0 offset:496
	s_ashr_i32 s0, s0, 1
	v_readlane_b32 s2, v47, 0
	s_waitcnt lgkmcnt(2)
	v_add_f64 v[6:7], v[6:7], v[14:15]
	s_add_i32 s0, s0, s2
	v_add_f64 v[6:7], v[8:9], v[6:7]
	v_readlane_b32 s3, v47, 1
	s_ashr_i32 s1, s0, 31
	s_waitcnt lgkmcnt(1)
	v_add_f64 v[6:7], v[10:11], v[6:7]
	s_lshl_b64 s[0:1], s[0:1], 3
	v_readlane_b32 s2, v47, 4
	v_add_f64 v[6:7], v[12:13], v[6:7]
	v_readlane_b32 s3, v47, 5
	s_add_u32 s0, s2, s0
	s_waitcnt lgkmcnt(0)
	v_add_f64 v[2:3], v[2:3], v[6:7]
	s_addc_u32 s1, s3, s1
	v_add_f64 v[2:3], v[4:5], v[2:3]
	global_store_dwordx2 v0, v[2:3], s[0:1]
.LBB1_12:
	s_endpgm
	.section	.rodata,"a",@progbits
	.p2align	6, 0x0
	.amdhsa_kernel _Z13cuda_mat_J_PIPKdPKiiS0_PdS0_
		.amdhsa_group_segment_fixed_size 512
		.amdhsa_private_segment_fixed_size 384
		.amdhsa_kernarg_size 48
		.amdhsa_user_sgpr_count 2
		.amdhsa_user_sgpr_dispatch_ptr 0
		.amdhsa_user_sgpr_queue_ptr 0
		.amdhsa_user_sgpr_kernarg_segment_ptr 1
		.amdhsa_user_sgpr_dispatch_id 0
		.amdhsa_user_sgpr_kernarg_preload_length 0
		.amdhsa_user_sgpr_kernarg_preload_offset 0
		.amdhsa_user_sgpr_private_segment_size 0
		.amdhsa_uses_dynamic_stack 0
		.amdhsa_enable_private_segment 1
		.amdhsa_system_sgpr_workgroup_id_x 1
		.amdhsa_system_sgpr_workgroup_id_y 1
		.amdhsa_system_sgpr_workgroup_id_z 0
		.amdhsa_system_sgpr_workgroup_info 0
		.amdhsa_system_vgpr_workitem_id 1
		.amdhsa_next_free_vgpr 122
		.amdhsa_next_free_sgpr 100
		.amdhsa_accum_offset 124
		.amdhsa_reserve_vcc 1
		.amdhsa_float_round_mode_32 0
		.amdhsa_float_round_mode_16_64 0
		.amdhsa_float_denorm_mode_32 3
		.amdhsa_float_denorm_mode_16_64 3
		.amdhsa_dx10_clamp 1
		.amdhsa_ieee_mode 1
		.amdhsa_fp16_overflow 0
		.amdhsa_tg_split 0
		.amdhsa_exception_fp_ieee_invalid_op 0
		.amdhsa_exception_fp_denorm_src 0
		.amdhsa_exception_fp_ieee_div_zero 0
		.amdhsa_exception_fp_ieee_overflow 0
		.amdhsa_exception_fp_ieee_underflow 0
		.amdhsa_exception_fp_ieee_inexact 0
		.amdhsa_exception_int_div_zero 0
	.end_amdhsa_kernel
	.text
.Lfunc_end1:
	.size	_Z13cuda_mat_J_PIPKdPKiiS0_PdS0_, .Lfunc_end1-_Z13cuda_mat_J_PIPKdPKiiS0_PdS0_
                                        ; -- End function
	.set _Z13cuda_mat_J_PIPKdPKiiS0_PdS0_.num_vgpr, max(122, .L_Z12cuda_rys_pbfPKdS0_S0_S0_.num_vgpr)
	.set _Z13cuda_mat_J_PIPKdPKiiS0_PdS0_.num_agpr, max(0, .L_Z12cuda_rys_pbfPKdS0_S0_S0_.num_agpr)
	.set _Z13cuda_mat_J_PIPKdPKiiS0_PdS0_.numbered_sgpr, max(34, .L_Z12cuda_rys_pbfPKdS0_S0_S0_.numbered_sgpr)
	.set _Z13cuda_mat_J_PIPKdPKiiS0_PdS0_.num_named_barrier, max(0, .L_Z12cuda_rys_pbfPKdS0_S0_S0_.num_named_barrier)
	.set _Z13cuda_mat_J_PIPKdPKiiS0_PdS0_.private_seg_size, 0+max(.L_Z12cuda_rys_pbfPKdS0_S0_S0_.private_seg_size)
	.set _Z13cuda_mat_J_PIPKdPKiiS0_PdS0_.uses_vcc, or(1, .L_Z12cuda_rys_pbfPKdS0_S0_S0_.uses_vcc)
	.set _Z13cuda_mat_J_PIPKdPKiiS0_PdS0_.uses_flat_scratch, or(0, .L_Z12cuda_rys_pbfPKdS0_S0_S0_.uses_flat_scratch)
	.set _Z13cuda_mat_J_PIPKdPKiiS0_PdS0_.has_dyn_sized_stack, or(0, .L_Z12cuda_rys_pbfPKdS0_S0_S0_.has_dyn_sized_stack)
	.set _Z13cuda_mat_J_PIPKdPKiiS0_PdS0_.has_recursion, or(0, .L_Z12cuda_rys_pbfPKdS0_S0_S0_.has_recursion)
	.set _Z13cuda_mat_J_PIPKdPKiiS0_PdS0_.has_indirect_call, or(0, .L_Z12cuda_rys_pbfPKdS0_S0_S0_.has_indirect_call)
	.section	.AMDGPU.csdata,"",@progbits
; Kernel info:
; codeLenInByte = 2404
; TotalNumSgprs: 106
; NumVgprs: 122
; NumAgprs: 0
; TotalNumVgprs: 122
; ScratchSize: 384
; MemoryBound: 0
; FloatMode: 240
; IeeeMode: 1
; LDSByteSize: 512 bytes/workgroup (compile time only)
; SGPRBlocks: 13
; VGPRBlocks: 15
; NumSGPRsForWavesPerEU: 106
; NumVGPRsForWavesPerEU: 122
; AccumOffset: 124
; Occupancy: 4
; WaveLimiterHint : 0
; COMPUTE_PGM_RSRC2:SCRATCH_EN: 1
; COMPUTE_PGM_RSRC2:USER_SGPR: 2
; COMPUTE_PGM_RSRC2:TRAP_HANDLER: 0
; COMPUTE_PGM_RSRC2:TGID_X_EN: 1
; COMPUTE_PGM_RSRC2:TGID_Y_EN: 1
; COMPUTE_PGM_RSRC2:TGID_Z_EN: 0
; COMPUTE_PGM_RSRC2:TIDIG_COMP_CNT: 1
; COMPUTE_PGM_RSRC3_GFX90A:ACCUM_OFFSET: 30
; COMPUTE_PGM_RSRC3_GFX90A:TG_SPLIT: 0
	.text
	.protected	_Z13cuda_mat_K_PIPKdPKiiS0_PdS0_ ; -- Begin function _Z13cuda_mat_K_PIPKdPKiiS0_PdS0_
	.globl	_Z13cuda_mat_K_PIPKdPKiiS0_PdS0_
	.p2align	8
	.type	_Z13cuda_mat_K_PIPKdPKiiS0_PdS0_,@function
_Z13cuda_mat_K_PIPKdPKiiS0_PdS0_:       ; @_Z13cuda_mat_K_PIPKdPKiiS0_PdS0_
; %bb.0:
	s_load_dword s33, s[0:1], 0x10
	s_mov_b32 s4, s3
                                        ; implicit-def: $vgpr46 : SGPR spill to VGPR lane
	s_mov_b32 s32, 0
	v_writelane_b32 v46, s4, 0
	s_waitcnt lgkmcnt(0)
	s_cmp_ge_i32 s2, s33
	v_writelane_b32 v46, s5, 1
	s_mov_b32 s4, s2
	s_cselect_b64 s[8:9], -1, 0
	v_writelane_b32 v46, s4, 2
	s_cmp_gt_i32 s3, s2
	s_nop 0
	v_writelane_b32 v46, s5, 3
	s_cselect_b64 s[4:5], -1, 0
	s_or_b64 s[2:3], s[4:5], s[8:9]
	s_and_b64 vcc, exec, s[2:3]
	s_cbranch_vccnz .LBB2_12
; %bb.1:
	s_load_dwordx2 s[2:3], s[0:1], 0x20
	v_bfe_u32 v41, v0, 10, 10
	v_and_b32_e32 v40, 0x3ff, v0
	v_lshlrev_b32_e32 v42, 3, v41
	v_mov_b32_e32 v95, 0
	s_waitcnt lgkmcnt(0)
	v_writelane_b32 v46, s2, 4
	v_lshl_add_u32 v43, v40, 6, v42
	v_mov_b32_e32 v94, v95
	v_writelane_b32 v46, s3, 5
	ds_write_b64 v43, v[94:95]
	v_cmp_gt_i32_e32 vcc, s33, v40
	s_mov_b64 s[2:3], exec
	v_writelane_b32 v46, s2, 6
	s_nop 1
	v_writelane_b32 v46, s3, 7
	s_and_b64 s[2:3], s[2:3], vcc
	s_mov_b64 exec, s[2:3]
	s_cbranch_execz .LBB2_10
; %bb.2:
	s_load_dwordx4 s[8:11], s[0:1], 0x0
	s_load_dwordx2 s[2:3], s[0:1], 0x18
                                        ; kill: killed $sgpr0_sgpr1
	v_lshlrev_b32_e32 v94, 2, v41
	v_mov_b64_e32 v[106:107], 0
	v_mov_b32_e32 v108, v40
	s_waitcnt lgkmcnt(0)
	v_writelane_b32 v46, s2, 8
	s_nop 1
	v_writelane_b32 v46, s3, 9
	s_load_dwordx2 s[2:3], s[0:1], 0x28
	s_waitcnt lgkmcnt(0)
	v_writelane_b32 v46, s2, 10
	s_nop 1
	v_writelane_b32 v46, s3, 11
	s_nop 0
	v_readlane_b32 s0, v46, 2
	v_readlane_b32 s1, v46, 3
	s_mov_b32 s2, s0
	s_lshl_b32 s0, s0, 3
	s_ashr_i32 s1, s0, 31
	s_lshl_b64 s[0:1], s[0:1], 3
	s_add_u32 s0, s8, s0
	v_writelane_b32 v46, s0, 12
	s_addc_u32 s0, s9, s1
	v_writelane_b32 v46, s0, 13
	s_nop 0
	v_readlane_b32 s0, v46, 0
	v_readlane_b32 s1, v46, 1
	s_mov_b32 s4, s0
	s_lshl_b32 s0, s0, 3
	s_ashr_i32 s1, s0, 31
	s_lshl_b64 s[0:1], s[0:1], 3
	s_add_u32 s0, s8, s0
	v_writelane_b32 v46, s0, 14
	s_addc_u32 s0, s9, s1
	v_writelane_b32 v46, s0, 15
	s_mov_b32 s0, s2
	s_ashr_i32 s3, s2, 31
	v_writelane_b32 v46, s0, 2
	s_nop 1
	v_writelane_b32 v46, s1, 3
	s_lshl_b64 s[0:1], s[2:3], 2
	s_add_u32 s0, s10, s0
	s_mov_b32 s2, s4
	s_addc_u32 s1, s11, s1
	s_ashr_i32 s5, s4, 31
	v_writelane_b32 v46, s2, 0
                                        ; kill: killed $sgpr0 killed $sgpr1
	s_nop 1
	v_writelane_b32 v46, s3, 1
	s_lshl_b64 s[2:3], s[4:5], 2
	s_load_dword s4, s[0:1], 0x0
	s_add_u32 s2, s10, s2
	s_addc_u32 s3, s11, s3
                                        ; kill: killed $sgpr2 killed $sgpr3
	s_mov_b64 s[0:1], 0
	s_waitcnt lgkmcnt(0)
	v_writelane_b32 v46, s4, 16
	s_load_dword s4, s[2:3], 0x0
	v_cmp_gt_u32_e64 s[2:3], s33, v41
	s_waitcnt lgkmcnt(0)
	v_writelane_b32 v46, s4, 17
	v_writelane_b32 v46, s8, 18
	s_nop 1
	v_writelane_b32 v46, s9, 19
	v_writelane_b32 v46, s10, 20
	;; [unrolled: 1-line block ×3, first 2 shown]
	v_lshl_add_u64 v[104:105], s[10:11], 0, v[94:95]
	v_writelane_b32 v46, s2, 22
	s_nop 1
	v_writelane_b32 v46, s3, 23
	s_branch .LBB2_5
.LBB2_3:                                ;   in Loop: Header=BB2_5 Depth=1
	s_or_b64 exec, exec, s[0:1]
	v_readlane_b32 s2, v46, 22
	v_readlane_b32 s3, v46, 23
.LBB2_4:                                ;   in Loop: Header=BB2_5 Depth=1
	v_readlane_b32 s0, v46, 26
	v_readlane_b32 s1, v46, 27
	s_or_b64 exec, exec, s[0:1]
	v_readlane_b32 s0, v46, 24
	v_add_u32_e32 v108, 8, v108
	v_readlane_b32 s1, v46, 25
	v_cmp_le_i32_e32 vcc, s33, v108
	s_or_b64 s[0:1], vcc, s[0:1]
	s_andn2_b64 exec, exec, s[0:1]
	s_cbranch_execz .LBB2_10
.LBB2_5:                                ; =>This Loop Header: Depth=1
                                        ;     Child Loop BB2_8 Depth 2
	v_writelane_b32 v46, s0, 24
	s_nop 1
	v_writelane_b32 v46, s1, 25
	s_mov_b64 s[0:1], exec
	v_writelane_b32 v46, s0, 26
	s_nop 1
	v_writelane_b32 v46, s1, 27
	s_and_b64 s[0:1], s[0:1], s[2:3]
	s_mov_b64 exec, s[0:1]
	s_cbranch_execz .LBB2_4
; %bb.6:                                ;   in Loop: Header=BB2_5 Depth=1
	v_readlane_b32 s8, v46, 18
	v_mov_b32_e32 v109, v95
	v_readlane_b32 s10, v46, 20
	v_readlane_b32 s11, v46, 21
	;; [unrolled: 1-line block ×4, first 2 shown]
	v_lshl_add_u64 v[0:1], v[108:109], 2, s[10:11]
	global_load_dword v44, v[0:1], off
	v_lshlrev_b32_e32 v94, 3, v108
	v_lshl_add_u64 v[88:89], v[94:95], 3, s[8:9]
	v_mov_b32_e32 v94, v42
	v_mov_b64_e32 v[120:121], v[104:105]
	v_mov_b32_e32 v45, v41
	s_waitcnt vmcnt(0)
	v_max_i32_e32 v0, s2, v44
	v_mad_u64_u32 v[0:1], s[0:1], v0, v0, v[0:1]
	v_lshrrev_b32_e32 v1, 31, v0
	v_add_u32_e32 v0, v0, v1
	v_ashrrev_i32_e32 v0, 1, v0
	v_min_i32_e32 v1, s2, v44
	v_add_u32_e32 v0, v0, v1
	v_readlane_b32 s0, v46, 10
	v_ashrrev_i32_e32 v1, 31, v0
	v_readlane_b32 s1, v46, 11
	s_nop 1
	v_lshl_add_u64 v[0:1], v[0:1], 3, s[0:1]
	global_load_dwordx2 v[110:111], v[0:1], off
	s_mov_b64 s[0:1], 0
	s_branch .LBB2_8
.LBB2_7:                                ;   in Loop: Header=BB2_8 Depth=2
	v_readlane_b32 s0, v46, 30
	v_readlane_b32 s1, v46, 31
	s_or_b64 exec, exec, s[0:1]
	v_add_u32_e32 v45, 8, v45
	v_readlane_b32 s0, v46, 28
	v_cmp_le_i32_e32 vcc, s33, v45
	v_readlane_b32 s1, v46, 29
	v_lshl_add_u64 v[120:121], v[120:121], 0, 32
	s_or_b64 s[0:1], vcc, s[0:1]
	v_add_u32_e32 v94, 64, v94
	s_andn2_b64 exec, exec, s[0:1]
	s_cbranch_execz .LBB2_3
.LBB2_8:                                ;   Parent Loop BB2_5 Depth=1
                                        ; =>  This Inner Loop Header: Depth=2
	global_load_dword v1, v[120:121], off
	v_writelane_b32 v46, s0, 28
	s_waitcnt vmcnt(0)
	v_min_i32_e32 v5, v44, v1
	v_writelane_b32 v46, s1, 29
	v_max_i32_e32 v2, v44, v1
	v_readlane_b32 s0, v46, 17
	s_nop 1
	v_max_i32_e32 v0, s0, v1
	v_min_i32_e32 v4, s0, v1
	v_mad_u64_u32 v[0:1], s[0:1], v0, v0, v[0:1]
	v_mad_u64_u32 v[2:3], s[0:1], v2, v2, v[2:3]
	v_lshrrev_b32_e32 v1, 31, v0
	v_lshrrev_b32_e32 v3, 31, v2
	v_add_u32_e32 v0, v0, v1
	v_add_u32_e32 v1, v2, v3
	v_ashrrev_i32_e32 v0, 1, v0
	v_ashrrev_i32_e32 v1, 1, v1
	v_add_u32_e32 v0, v0, v4
	v_readlane_b32 s0, v46, 10
	v_add_u32_e32 v2, v1, v5
	v_ashrrev_i32_e32 v1, 31, v0
	v_readlane_b32 s1, v46, 11
	v_ashrrev_i32_e32 v3, 31, v2
	s_nop 0
	v_lshl_add_u64 v[0:1], v[0:1], 3, s[0:1]
	v_readlane_b32 s0, v46, 8
	v_readlane_b32 s1, v46, 9
	global_load_dwordx2 v[0:1], v[0:1], off
	s_waitcnt vmcnt(0)
	v_mul_f64 v[0:1], v[110:111], v[0:1]
	v_lshl_add_u64 v[2:3], v[2:3], 3, s[0:1]
	global_load_dwordx2 v[122:123], v[2:3], off
	s_mov_b32 s0, 0x97d889bc
	s_mov_b32 s1, 0x3c9cd2b2
	s_waitcnt vmcnt(0)
	v_mul_f64 v[0:1], v[0:1], v[122:123]
	v_cmp_nlt_f64_e64 s[0:1], |v[0:1]|, s[0:1]
	s_mov_b64 s[2:3], exec
	v_writelane_b32 v46, s2, 30
	s_and_b64 s[0:1], s[2:3], s[0:1]
	s_nop 0
	v_writelane_b32 v46, s3, 31
	s_mov_b64 exec, s[0:1]
	s_cbranch_execz .LBB2_7
; %bb.9:                                ;   in Loop: Header=BB2_8 Depth=2
	v_readlane_b32 s0, v46, 18
	v_readlane_b32 s2, v46, 20
	;; [unrolled: 1-line block ×4, first 2 shown]
	v_mov_b32_e32 v2, v88
	v_mov_b32_e32 v0, s2
	v_readlane_b32 s2, v46, 13
	v_lshl_add_u64 v[6:7], v[94:95], 3, s[0:1]
	s_getpc_b64 s[0:1]
	s_add_u32 s0, s0, _Z12cuda_rys_pbfPKdS0_S0_S0_@rel32@lo+4
	s_addc_u32 s1, s1, _Z12cuda_rys_pbfPKdS0_S0_S0_@rel32@hi+12
	v_mov_b32_e32 v1, s2
	v_readlane_b32 s2, v46, 14
	v_mov_b32_e32 v3, v89
	v_readlane_b32 s3, v46, 21
	;; [unrolled: 2-line block ×3, first 2 shown]
	s_nop 1
	v_mov_b32_e32 v5, s2
	s_swappc_b64 s[30:31], s[0:1]
	v_cvt_f64_f32_e32 v[0:1], v0
	v_fmac_f64_e32 v[106:107], v[122:123], v[0:1]
	ds_write_b64 v43, v[106:107]
	s_branch .LBB2_7
.LBB2_10:
	v_readlane_b32 s0, v46, 6
	v_readlane_b32 s1, v46, 7
	s_or_b64 exec, exec, s[0:1]
	v_or_b32_e32 v0, v40, v41
	v_cmp_eq_u32_e32 vcc, 0, v0
	s_waitcnt lgkmcnt(0)
	s_barrier
	s_and_saveexec_b64 s[0:1], vcc
	s_cbranch_execz .LBB2_12
; %bb.11:
	v_mov_b32_e32 v0, 0
	ds_read_b128 v[2:5], v0
	ds_read_b128 v[6:9], v0 offset:16
	ds_read_b128 v[10:13], v0 offset:32
	;; [unrolled: 1-line block ×3, first 2 shown]
	v_readlane_b32 s0, v46, 2
	s_mov_b32 s2, s0
	s_add_i32 s0, s0, 1
	s_waitcnt lgkmcnt(3)
	v_add_f64 v[2:3], v[2:3], 0
	v_add_f64 v[2:3], v[4:5], v[2:3]
	s_waitcnt lgkmcnt(2)
	v_add_f64 v[2:3], v[6:7], v[2:3]
	v_add_f64 v[2:3], v[8:9], v[2:3]
	s_waitcnt lgkmcnt(1)
	v_add_f64 v[6:7], v[10:11], v[2:3]
	ds_read_b128 v[2:5], v0 offset:64
	v_add_f64 v[6:7], v[12:13], v[6:7]
	s_waitcnt lgkmcnt(1)
	v_add_f64 v[10:11], v[14:15], v[6:7]
	ds_read_b128 v[6:9], v0 offset:80
	;; [unrolled: 4-line block ×25, first 2 shown]
	v_add_f64 v[6:7], v[8:9], v[6:7]
	s_waitcnt lgkmcnt(1)
	v_add_f64 v[6:7], v[10:11], v[6:7]
	v_add_f64 v[10:11], v[12:13], v[6:7]
	ds_read_b128 v[6:9], v0 offset:464
	v_readlane_b32 s1, v46, 3
	s_mul_i32 s0, s0, s2
	s_waitcnt lgkmcnt(1)
	v_add_f64 v[2:3], v[2:3], v[10:11]
	ds_read_b128 v[10:13], v0 offset:480
	s_lshr_b32 s1, s0, 31
	s_add_i32 s0, s0, s1
	v_add_f64 v[14:15], v[4:5], v[2:3]
	ds_read_b128 v[2:5], v0 offset:496
	s_ashr_i32 s0, s0, 1
	v_readlane_b32 s2, v46, 0
	s_waitcnt lgkmcnt(2)
	v_add_f64 v[6:7], v[6:7], v[14:15]
	s_add_i32 s0, s0, s2
	v_add_f64 v[6:7], v[8:9], v[6:7]
	v_readlane_b32 s3, v46, 1
	s_ashr_i32 s1, s0, 31
	s_waitcnt lgkmcnt(1)
	v_add_f64 v[6:7], v[10:11], v[6:7]
	s_lshl_b64 s[0:1], s[0:1], 3
	v_readlane_b32 s2, v46, 4
	v_add_f64 v[6:7], v[12:13], v[6:7]
	v_readlane_b32 s3, v46, 5
	s_add_u32 s0, s2, s0
	s_waitcnt lgkmcnt(0)
	v_add_f64 v[2:3], v[2:3], v[6:7]
	s_addc_u32 s1, s3, s1
	v_add_f64 v[2:3], v[4:5], v[2:3]
	global_store_dwordx2 v0, v[2:3], s[0:1]
.LBB2_12:
	s_endpgm
	.section	.rodata,"a",@progbits
	.p2align	6, 0x0
	.amdhsa_kernel _Z13cuda_mat_K_PIPKdPKiiS0_PdS0_
		.amdhsa_group_segment_fixed_size 512
		.amdhsa_private_segment_fixed_size 384
		.amdhsa_kernarg_size 48
		.amdhsa_user_sgpr_count 2
		.amdhsa_user_sgpr_dispatch_ptr 0
		.amdhsa_user_sgpr_queue_ptr 0
		.amdhsa_user_sgpr_kernarg_segment_ptr 1
		.amdhsa_user_sgpr_dispatch_id 0
		.amdhsa_user_sgpr_kernarg_preload_length 0
		.amdhsa_user_sgpr_kernarg_preload_offset 0
		.amdhsa_user_sgpr_private_segment_size 0
		.amdhsa_uses_dynamic_stack 0
		.amdhsa_enable_private_segment 1
		.amdhsa_system_sgpr_workgroup_id_x 1
		.amdhsa_system_sgpr_workgroup_id_y 1
		.amdhsa_system_sgpr_workgroup_id_z 0
		.amdhsa_system_sgpr_workgroup_info 0
		.amdhsa_system_vgpr_workitem_id 1
		.amdhsa_next_free_vgpr 124
		.amdhsa_next_free_sgpr 100
		.amdhsa_accum_offset 124
		.amdhsa_reserve_vcc 1
		.amdhsa_float_round_mode_32 0
		.amdhsa_float_round_mode_16_64 0
		.amdhsa_float_denorm_mode_32 3
		.amdhsa_float_denorm_mode_16_64 3
		.amdhsa_dx10_clamp 1
		.amdhsa_ieee_mode 1
		.amdhsa_fp16_overflow 0
		.amdhsa_tg_split 0
		.amdhsa_exception_fp_ieee_invalid_op 0
		.amdhsa_exception_fp_denorm_src 0
		.amdhsa_exception_fp_ieee_div_zero 0
		.amdhsa_exception_fp_ieee_overflow 0
		.amdhsa_exception_fp_ieee_underflow 0
		.amdhsa_exception_fp_ieee_inexact 0
		.amdhsa_exception_int_div_zero 0
	.end_amdhsa_kernel
	.text
.Lfunc_end2:
	.size	_Z13cuda_mat_K_PIPKdPKiiS0_PdS0_, .Lfunc_end2-_Z13cuda_mat_K_PIPKdPKiiS0_PdS0_
                                        ; -- End function
	.set _Z13cuda_mat_K_PIPKdPKiiS0_PdS0_.num_vgpr, max(124, .L_Z12cuda_rys_pbfPKdS0_S0_S0_.num_vgpr)
	.set _Z13cuda_mat_K_PIPKdPKiiS0_PdS0_.num_agpr, max(0, .L_Z12cuda_rys_pbfPKdS0_S0_S0_.num_agpr)
	.set _Z13cuda_mat_K_PIPKdPKiiS0_PdS0_.numbered_sgpr, max(34, .L_Z12cuda_rys_pbfPKdS0_S0_S0_.numbered_sgpr)
	.set _Z13cuda_mat_K_PIPKdPKiiS0_PdS0_.num_named_barrier, max(0, .L_Z12cuda_rys_pbfPKdS0_S0_S0_.num_named_barrier)
	.set _Z13cuda_mat_K_PIPKdPKiiS0_PdS0_.private_seg_size, 0+max(.L_Z12cuda_rys_pbfPKdS0_S0_S0_.private_seg_size)
	.set _Z13cuda_mat_K_PIPKdPKiiS0_PdS0_.uses_vcc, or(1, .L_Z12cuda_rys_pbfPKdS0_S0_S0_.uses_vcc)
	.set _Z13cuda_mat_K_PIPKdPKiiS0_PdS0_.uses_flat_scratch, or(0, .L_Z12cuda_rys_pbfPKdS0_S0_S0_.uses_flat_scratch)
	.set _Z13cuda_mat_K_PIPKdPKiiS0_PdS0_.has_dyn_sized_stack, or(0, .L_Z12cuda_rys_pbfPKdS0_S0_S0_.has_dyn_sized_stack)
	.set _Z13cuda_mat_K_PIPKdPKiiS0_PdS0_.has_recursion, or(0, .L_Z12cuda_rys_pbfPKdS0_S0_S0_.has_recursion)
	.set _Z13cuda_mat_K_PIPKdPKiiS0_PdS0_.has_indirect_call, or(0, .L_Z12cuda_rys_pbfPKdS0_S0_S0_.has_indirect_call)
	.section	.AMDGPU.csdata,"",@progbits
; Kernel info:
; codeLenInByte = 2428
; TotalNumSgprs: 106
; NumVgprs: 124
; NumAgprs: 0
; TotalNumVgprs: 124
; ScratchSize: 384
; MemoryBound: 0
; FloatMode: 240
; IeeeMode: 1
; LDSByteSize: 512 bytes/workgroup (compile time only)
; SGPRBlocks: 13
; VGPRBlocks: 15
; NumSGPRsForWavesPerEU: 106
; NumVGPRsForWavesPerEU: 124
; AccumOffset: 124
; Occupancy: 4
; WaveLimiterHint : 0
; COMPUTE_PGM_RSRC2:SCRATCH_EN: 1
; COMPUTE_PGM_RSRC2:USER_SGPR: 2
; COMPUTE_PGM_RSRC2:TRAP_HANDLER: 0
; COMPUTE_PGM_RSRC2:TGID_X_EN: 1
; COMPUTE_PGM_RSRC2:TGID_Y_EN: 1
; COMPUTE_PGM_RSRC2:TGID_Z_EN: 0
; COMPUTE_PGM_RSRC2:TIDIG_COMP_CNT: 1
; COMPUTE_PGM_RSRC3_GFX90A:ACCUM_OFFSET: 30
; COMPUTE_PGM_RSRC3_GFX90A:TG_SPLIT: 0
	.text
	.p2alignl 6, 3212836864
	.fill 256, 4, 3212836864
	.section	.AMDGPU.gpr_maximums,"",@progbits
	.set amdgpu.max_num_vgpr, 120
	.set amdgpu.max_num_agpr, 0
	.set amdgpu.max_num_sgpr, 100
	.text
	.type	__hip_cuid_3bf315074fb7c026,@object ; @__hip_cuid_3bf315074fb7c026
	.section	.bss,"aw",@nobits
	.globl	__hip_cuid_3bf315074fb7c026
__hip_cuid_3bf315074fb7c026:
	.byte	0                               ; 0x0
	.size	__hip_cuid_3bf315074fb7c026, 1

	.ident	"AMD clang version 22.0.0git (https://github.com/RadeonOpenCompute/llvm-project roc-7.2.4 26084 f58b06dce1f9c15707c5f808fd002e18c2accf7e)"
	.section	".note.GNU-stack","",@progbits
	.addrsig
	.addrsig_sym __hip_cuid_3bf315074fb7c026
	.amdgpu_metadata
---
amdhsa.kernels:
  - .agpr_count:     0
    .args:
      - .actual_access:  read_only
        .address_space:  global
        .offset:         0
        .size:           8
        .value_kind:     global_buffer
      - .actual_access:  read_only
        .address_space:  global
        .offset:         8
        .size:           8
        .value_kind:     global_buffer
      - .offset:         16
        .size:           4
        .value_kind:     by_value
      - .actual_access:  read_only
        .address_space:  global
        .offset:         24
        .size:           8
        .value_kind:     global_buffer
      - .actual_access:  write_only
        .address_space:  global
        .offset:         32
        .size:           8
        .value_kind:     global_buffer
      - .actual_access:  read_only
        .address_space:  global
        .offset:         40
        .size:           8
        .value_kind:     global_buffer
    .group_segment_fixed_size: 512
    .kernarg_segment_align: 8
    .kernarg_segment_size: 48
    .language:       OpenCL C
    .language_version:
      - 2
      - 0
    .max_flat_workgroup_size: 1024
    .name:           _Z13cuda_mat_J_PIPKdPKiiS0_PdS0_
    .private_segment_fixed_size: 384
    .sgpr_count:     106
    .sgpr_spill_count: 36
    .symbol:         _Z13cuda_mat_J_PIPKdPKiiS0_PdS0_.kd
    .uniform_work_group_size: 1
    .uses_dynamic_stack: false
    .vgpr_count:     122
    .vgpr_spill_count: 0
    .wavefront_size: 64
  - .agpr_count:     0
    .args:
      - .actual_access:  read_only
        .address_space:  global
        .offset:         0
        .size:           8
        .value_kind:     global_buffer
      - .actual_access:  read_only
        .address_space:  global
        .offset:         8
        .size:           8
        .value_kind:     global_buffer
      - .offset:         16
        .size:           4
        .value_kind:     by_value
      - .actual_access:  read_only
        .address_space:  global
        .offset:         24
        .size:           8
        .value_kind:     global_buffer
      - .actual_access:  write_only
        .address_space:  global
        .offset:         32
        .size:           8
        .value_kind:     global_buffer
      - .actual_access:  read_only
        .address_space:  global
        .offset:         40
        .size:           8
        .value_kind:     global_buffer
    .group_segment_fixed_size: 512
    .kernarg_segment_align: 8
    .kernarg_segment_size: 48
    .language:       OpenCL C
    .language_version:
      - 2
      - 0
    .max_flat_workgroup_size: 1024
    .name:           _Z13cuda_mat_K_PIPKdPKiiS0_PdS0_
    .private_segment_fixed_size: 384
    .sgpr_count:     106
    .sgpr_spill_count: 36
    .symbol:         _Z13cuda_mat_K_PIPKdPKiiS0_PdS0_.kd
    .uniform_work_group_size: 1
    .uses_dynamic_stack: false
    .vgpr_count:     124
    .vgpr_spill_count: 0
    .wavefront_size: 64
amdhsa.target:   amdgcn-amd-amdhsa--gfx950
amdhsa.version:
  - 1
  - 2
...

	.end_amdgpu_metadata
